;; amdgpu-corpus repo=ROCm/rocFFT kind=compiled arch=gfx1030 opt=O3
	.text
	.amdgcn_target "amdgcn-amd-amdhsa--gfx1030"
	.amdhsa_code_object_version 6
	.protected	bluestein_single_fwd_len3456_dim1_dp_op_CI_CI ; -- Begin function bluestein_single_fwd_len3456_dim1_dp_op_CI_CI
	.globl	bluestein_single_fwd_len3456_dim1_dp_op_CI_CI
	.p2align	8
	.type	bluestein_single_fwd_len3456_dim1_dp_op_CI_CI,@function
bluestein_single_fwd_len3456_dim1_dp_op_CI_CI: ; @bluestein_single_fwd_len3456_dim1_dp_op_CI_CI
; %bb.0:
	s_load_dwordx4 s[16:19], s[4:5], 0x28
	v_mul_u32_u24_e32 v1, 0x1c8, v0
	s_mov_b64 s[22:23], s[2:3]
	s_mov_b64 s[20:21], s[0:1]
	v_mov_b32_e32 v3, 0
	s_add_u32 s20, s20, s7
	v_lshrrev_b32_e32 v1, 16, v1
	s_addc_u32 s21, s21, 0
	s_mov_b32 s0, exec_lo
	v_add_nc_u32_e32 v2, s6, v1
	s_waitcnt lgkmcnt(0)
	v_cmpx_gt_u64_e64 s[16:17], v[2:3]
	s_cbranch_execz .LBB0_2
; %bb.1:
	s_clause 0x1
	s_load_dwordx4 s[0:3], s[4:5], 0x18
	s_load_dwordx4 s[8:11], s[4:5], 0x0
	v_mov_b32_e32 v4, v2
	v_mul_lo_u16 v1, 0x90, v1
	v_mov_b32_e32 v122, 4
	v_sub_nc_u16 v120, v0, v1
	v_and_b32_e32 v119, 0xffff, v120
	v_or_b32_e32 v9, 0x900, v119
	v_lshlrev_b32_e32 v44, 4, v119
	s_waitcnt lgkmcnt(0)
	s_load_dwordx4 s[12:15], s[0:1], 0x0
	buffer_store_dword v4, off, s[20:23], 0 ; 4-byte Folded Spill
	buffer_store_dword v5, off, s[20:23], 0 offset:4 ; 4-byte Folded Spill
	v_add_co_u32 v121, null, 0x90, v119
	v_lshlrev_b32_e32 v13, 4, v9
	v_add_co_u32 v45, s0, s8, v44
	global_load_dwordx4 v[62:65], v44, s[8:9]
	v_add_co_ci_u32_e64 v46, null, s9, 0, s0
	global_load_dwordx4 v[66:69], v13, s[8:9]
	buffer_store_dword v9, off, s[20:23], 0 offset:8 ; 4-byte Folded Spill
	v_add_co_u32 v12, s0, 0x4800, v45
	buffer_store_dword v13, off, s[20:23], 0 offset:400 ; 4-byte Folded Spill
	v_mov_b32_e32 v147, v119
	s_waitcnt lgkmcnt(0)
	v_mad_u64_u32 v[0:1], null, s14, v2, 0
	v_mad_u64_u32 v[2:3], null, s12, v119, 0
	s_mul_hi_u32 s7, s12, 0x2400
	s_mul_i32 s6, s12, 0x2400
	s_add_u32 s14, s8, 0xd800
	s_mul_i32 s8, s13, 0xffff5500
	v_mad_u64_u32 v[4:5], null, s15, v4, v[1:2]
	v_mad_u64_u32 v[5:6], null, s12, v9, 0
	s_addc_u32 s15, s9, 0
	s_mov_b32 s9, 0xbfebb67a
	v_mad_u64_u32 v[7:8], null, s13, v119, v[3:4]
	v_mov_b32_e32 v1, v4
	v_mov_b32_e32 v4, v6
	v_lshlrev_b64 v[0:1], 4, v[0:1]
	v_mov_b32_e32 v3, v7
	v_mad_u64_u32 v[6:7], null, s13, v9, v[4:5]
	v_add_co_u32 v7, vcc_lo, s18, v0
	v_lshlrev_b64 v[2:3], 4, v[2:3]
	v_add_co_ci_u32_e32 v11, vcc_lo, s19, v1, vcc_lo
	v_lshlrev_b64 v[4:5], 4, v[5:6]
	v_add_co_u32 v8, vcc_lo, v7, v2
	v_add_co_ci_u32_e32 v9, vcc_lo, v11, v3, vcc_lo
	v_add_co_u32 v4, s1, v7, v4
	v_add_co_u32 v10, vcc_lo, 0x2000, v45
	v_add_co_ci_u32_e64 v5, s1, v11, v5, s1
	s_mul_i32 s1, s13, 0x2400
	v_add_co_ci_u32_e32 v11, vcc_lo, 0, v46, vcc_lo
	global_load_dwordx4 v[0:3], v[8:9], off
	s_add_i32 s1, s7, s1
	v_add_co_u32 v8, vcc_lo, v8, s6
	v_add_co_ci_u32_e32 v9, vcc_lo, s1, v9, vcc_lo
	global_load_dwordx4 v[70:73], v[10:11], off offset:1024
	v_add_co_u32 v14, vcc_lo, v8, s6
	v_add_co_ci_u32_e32 v15, vcc_lo, s1, v9, vcc_lo
	global_load_dwordx4 v[4:7], v[4:5], off
	v_add_co_u32 v16, vcc_lo, v14, s6
	v_add_co_ci_u32_e32 v17, vcc_lo, s1, v15, vcc_lo
	v_add_co_ci_u32_e64 v13, vcc_lo, 0, v46, s0
	global_load_dwordx4 v[8:11], v[8:9], off
	global_load_dwordx4 v[74:77], v[12:13], off
	;; [unrolled: 1-line block ×3, first 2 shown]
	v_add_co_u32 v18, vcc_lo, 0x6800, v45
	v_mad_u64_u32 v[24:25], null, 0x4800, s12, v[16:17]
	v_add_co_ci_u32_e32 v19, vcc_lo, 0, v46, vcc_lo
	v_add_co_u32 v21, vcc_lo, 0xb000, v45
	v_add_co_ci_u32_e32 v22, vcc_lo, 0, v46, vcc_lo
	v_mov_b32_e32 v20, v25
	global_load_dwordx4 v[78:81], v[18:19], off offset:1024
	s_mul_hi_u32 s0, s12, 0xffff5500
	global_load_dwordx4 v[82:85], v[21:22], off offset:1024
	s_sub_i32 s0, s0, s12
	v_mad_u64_u32 v[25:26], null, 0x4800, s13, v[20:21]
	v_add_co_u32 v26, vcc_lo, 0x800, v45
	s_mul_i32 s7, s12, 0xffff5500
	v_add_co_ci_u32_e32 v27, vcc_lo, 0, v46, vcc_lo
	s_add_i32 s0, s0, s8
	v_add_co_u32 v28, vcc_lo, v24, s7
	v_add_co_ci_u32_e32 v29, vcc_lo, s0, v25, vcc_lo
	v_add_co_u32 v30, vcc_lo, 0x2800, v45
	v_add_co_ci_u32_e32 v31, vcc_lo, 0, v46, vcc_lo
	;; [unrolled: 2-line block ×3, first 2 shown]
	s_clause 0x1
	global_load_dwordx4 v[16:19], v[16:17], off
	global_load_dwordx4 v[20:23], v[24:25], off
	global_load_dwordx4 v[86:89], v[26:27], off offset:256
	global_load_dwordx4 v[24:27], v[28:29], off
	global_load_dwordx4 v[90:93], v[30:31], off offset:1280
	global_load_dwordx4 v[28:31], v[32:33], off
	v_add_co_u32 v34, vcc_lo, 0x5000, v45
	v_add_co_ci_u32_e32 v35, vcc_lo, 0, v46, vcc_lo
	v_add_co_u32 v36, vcc_lo, v32, s6
	v_add_co_ci_u32_e32 v37, vcc_lo, s1, v33, vcc_lo
	;; [unrolled: 2-line block ×4, first 2 shown]
	v_add_co_u32 v42, vcc_lo, 0x9800, v45
	global_load_dwordx4 v[94:97], v[34:35], off offset:256
	global_load_dwordx4 v[32:35], v[36:37], off
	global_load_dwordx4 v[98:101], v[38:39], off offset:1280
	global_load_dwordx4 v[36:39], v[40:41], off
	v_add_co_ci_u32_e32 v43, vcc_lo, 0, v46, vcc_lo
	v_add_co_u32 v48, vcc_lo, v40, s6
	v_add_co_ci_u32_e32 v49, vcc_lo, s1, v41, vcc_lo
	global_load_dwordx4 v[102:105], v[42:43], off offset:256
	global_load_dwordx4 v[40:43], v[48:49], off
	v_add_co_u32 v50, vcc_lo, 0xb800, v45
	v_add_co_ci_u32_e32 v51, vcc_lo, 0, v46, vcc_lo
	v_add_co_u32 v48, vcc_lo, v48, s6
	v_add_co_ci_u32_e32 v49, vcc_lo, s1, v49, vcc_lo
	global_load_dwordx4 v[106:109], v[50:51], off offset:1280
	global_load_dwordx4 v[54:57], v[48:49], off
	s_waitcnt vmcnt(23)
	buffer_store_dword v62, off, s[20:23], 0 offset:300 ; 4-byte Folded Spill
	buffer_store_dword v63, off, s[20:23], 0 offset:304 ; 4-byte Folded Spill
	buffer_store_dword v64, off, s[20:23], 0 offset:308 ; 4-byte Folded Spill
	buffer_store_dword v65, off, s[20:23], 0 offset:312 ; 4-byte Folded Spill
	s_waitcnt vmcnt(22)
	buffer_store_dword v66, off, s[20:23], 0 offset:188 ; 4-byte Folded Spill
	buffer_store_dword v67, off, s[20:23], 0 offset:192 ; 4-byte Folded Spill
	buffer_store_dword v68, off, s[20:23], 0 offset:196 ; 4-byte Folded Spill
	buffer_store_dword v69, off, s[20:23], 0 offset:200 ; 4-byte Folded Spill
	;; [unrolled: 5-line block ×11, first 2 shown]
	v_mul_f64 v[50:51], v[2:3], v[64:65]
	v_mul_f64 v[58:59], v[6:7], v[68:69]
	;; [unrolled: 1-line block ×4, first 2 shown]
	v_fma_f64 v[0:1], v[0:1], v[62:63], v[50:51]
	v_fma_f64 v[4:5], v[4:5], v[66:67], v[58:59]
	v_fma_f64 v[6:7], v[6:7], v[66:67], -v[60:61]
	v_fma_f64 v[2:3], v[2:3], v[62:63], -v[52:53]
	v_mul_f64 v[50:51], v[10:11], v[72:73]
	v_mul_f64 v[52:53], v[8:9], v[72:73]
	;; [unrolled: 1-line block ×4, first 2 shown]
	v_fma_f64 v[8:9], v[8:9], v[70:71], v[50:51]
	v_fma_f64 v[10:11], v[10:11], v[70:71], -v[52:53]
	v_mul_f64 v[50:51], v[18:19], v[80:81]
	v_mul_f64 v[52:53], v[16:17], v[80:81]
	v_fma_f64 v[12:13], v[12:13], v[74:75], v[58:59]
	v_mul_f64 v[58:59], v[22:23], v[84:85]
	v_fma_f64 v[14:15], v[14:15], v[74:75], -v[60:61]
	v_mul_f64 v[60:61], v[20:21], v[84:85]
	v_fma_f64 v[16:17], v[16:17], v[78:79], v[50:51]
	v_fma_f64 v[18:19], v[18:19], v[78:79], -v[52:53]
	v_mul_f64 v[50:51], v[26:27], v[88:89]
	v_mul_f64 v[52:53], v[24:25], v[88:89]
	v_fma_f64 v[20:21], v[20:21], v[82:83], v[58:59]
	v_mul_f64 v[58:59], v[30:31], v[92:93]
	v_fma_f64 v[22:23], v[22:23], v[82:83], -v[60:61]
	v_mul_f64 v[60:61], v[28:29], v[92:93]
	v_fma_f64 v[24:25], v[24:25], v[86:87], v[50:51]
	v_fma_f64 v[26:27], v[26:27], v[86:87], -v[52:53]
	v_mul_f64 v[50:51], v[34:35], v[96:97]
	v_mul_f64 v[52:53], v[32:33], v[96:97]
	v_fma_f64 v[28:29], v[28:29], v[90:91], v[58:59]
	v_mul_f64 v[58:59], v[38:39], v[100:101]
	s_waitcnt vmcnt(2)
	v_mul_f64 v[62:63], v[42:43], v[104:105]
	v_mul_f64 v[64:65], v[40:41], v[104:105]
	v_fma_f64 v[30:31], v[30:31], v[90:91], -v[60:61]
	v_mul_f64 v[60:61], v[36:37], v[100:101]
	v_fma_f64 v[32:33], v[32:33], v[94:95], v[50:51]
	v_fma_f64 v[34:35], v[34:35], v[94:95], -v[52:53]
	s_waitcnt vmcnt(0)
	v_mul_f64 v[50:51], v[56:57], v[108:109]
	v_mul_f64 v[52:53], v[54:55], v[108:109]
	v_fma_f64 v[36:37], v[36:37], v[98:99], v[58:59]
	v_add_co_u32 v58, vcc_lo, 0x1000, v45
	v_add_co_ci_u32_e32 v59, vcc_lo, 0, v46, vcc_lo
	v_fma_f64 v[40:41], v[40:41], v[102:103], v[62:63]
	v_fma_f64 v[42:43], v[42:43], v[102:103], -v[64:65]
	v_fma_f64 v[38:39], v[38:39], v[98:99], -v[60:61]
	global_load_dwordx4 v[62:65], v[58:59], off offset:512
	v_add_co_u32 v60, vcc_lo, v48, s7
	v_add_co_ci_u32_e32 v61, vcc_lo, s0, v49, vcc_lo
	s_waitcnt vmcnt(0)
	buffer_store_dword v62, off, s[20:23], 0 offset:364 ; 4-byte Folded Spill
	buffer_store_dword v63, off, s[20:23], 0 offset:368 ; 4-byte Folded Spill
	;; [unrolled: 1-line block ×8, first 2 shown]
	v_add_co_u32 v59, vcc_lo, v60, s6
	v_fma_f64 v[47:48], v[54:55], v[106:107], v[50:51]
	v_fma_f64 v[49:50], v[56:57], v[106:107], -v[52:53]
	global_load_dwordx4 v[51:54], v[60:61], off
	v_add_co_ci_u32_e32 v60, vcc_lo, s1, v61, vcc_lo
	s_waitcnt vmcnt(0)
	v_mul_f64 v[55:56], v[53:54], v[64:65]
	v_mul_f64 v[57:58], v[51:52], v[64:65]
	v_fma_f64 v[51:52], v[51:52], v[62:63], v[55:56]
	v_add_co_u32 v55, vcc_lo, 0x3000, v45
	v_add_co_ci_u32_e32 v56, vcc_lo, 0, v46, vcc_lo
	v_fma_f64 v[53:54], v[53:54], v[62:63], -v[57:58]
	global_load_dwordx4 v[65:68], v[55:56], off offset:1536
	s_waitcnt vmcnt(0)
	buffer_store_dword v65, off, s[20:23], 0 offset:156 ; 4-byte Folded Spill
	buffer_store_dword v66, off, s[20:23], 0 offset:160 ; 4-byte Folded Spill
	buffer_store_dword v67, off, s[20:23], 0 offset:164 ; 4-byte Folded Spill
	buffer_store_dword v68, off, s[20:23], 0 offset:168 ; 4-byte Folded Spill
	global_load_dwordx4 v[55:58], v[59:60], off
	s_waitcnt vmcnt(0)
	v_mul_f64 v[63:64], v[55:56], v[67:68]
	v_mul_f64 v[61:62], v[57:58], v[67:68]
	v_fma_f64 v[57:58], v[57:58], v[65:66], -v[63:64]
	v_add_co_u32 v63, vcc_lo, v59, s6
	v_add_co_ci_u32_e32 v64, vcc_lo, s1, v60, vcc_lo
	v_add_co_u32 v59, vcc_lo, 0x5800, v45
	v_add_co_ci_u32_e32 v60, vcc_lo, 0, v46, vcc_lo
	global_load_dwordx4 v[69:72], v[59:60], off offset:512
	v_fma_f64 v[55:56], v[55:56], v[65:66], v[61:62]
	s_waitcnt vmcnt(0)
	buffer_store_dword v69, off, s[20:23], 0 offset:172 ; 4-byte Folded Spill
	buffer_store_dword v70, off, s[20:23], 0 offset:176 ; 4-byte Folded Spill
	buffer_store_dword v71, off, s[20:23], 0 offset:180 ; 4-byte Folded Spill
	buffer_store_dword v72, off, s[20:23], 0 offset:184 ; 4-byte Folded Spill
	global_load_dwordx4 v[59:62], v[63:64], off
	s_waitcnt vmcnt(0)
	v_mul_f64 v[67:68], v[59:60], v[71:72]
	v_mul_f64 v[65:66], v[61:62], v[71:72]
	v_fma_f64 v[61:62], v[61:62], v[69:70], -v[67:68]
	v_add_co_u32 v67, vcc_lo, v63, s6
	v_add_co_ci_u32_e32 v68, vcc_lo, s1, v64, vcc_lo
	v_add_co_u32 v63, vcc_lo, 0x7800, v45
	v_add_co_ci_u32_e32 v64, vcc_lo, 0, v46, vcc_lo
	global_load_dwordx4 v[73:76], v[63:64], off offset:1536
	v_fma_f64 v[59:60], v[59:60], v[69:70], v[65:66]
	;; [unrolled: 16-line block ×9, first 2 shown]
	s_waitcnt vmcnt(0)
	buffer_store_dword v101, off, s[20:23], 0 offset:76 ; 4-byte Folded Spill
	buffer_store_dword v102, off, s[20:23], 0 offset:80 ; 4-byte Folded Spill
	;; [unrolled: 1-line block ×4, first 2 shown]
	global_load_dwordx4 v[91:94], v[95:96], off
	v_add_co_u32 v95, vcc_lo, v95, s6
	v_add_co_ci_u32_e32 v96, vcc_lo, s1, v96, vcc_lo
	v_add_co_u32 v45, vcc_lo, 0xc800, v45
	v_add_co_ci_u32_e32 v46, vcc_lo, 0, v46, vcc_lo
	s_mov_b32 s6, 0xe8584caa
	s_mov_b32 s7, 0x3febb67a
	;; [unrolled: 1-line block ×3, first 2 shown]
	s_waitcnt vmcnt(0)
	v_mul_f64 v[97:98], v[93:94], v[103:104]
	v_mul_f64 v[99:100], v[91:92], v[103:104]
	v_fma_f64 v[91:92], v[91:92], v[101:102], v[97:98]
	v_fma_f64 v[93:94], v[93:94], v[101:102], -v[99:100]
	global_load_dwordx4 v[101:104], v[45:46], off offset:1792
	s_waitcnt vmcnt(0)
	buffer_store_dword v101, off, s[20:23], 0 offset:92 ; 4-byte Folded Spill
	buffer_store_dword v102, off, s[20:23], 0 offset:96 ; 4-byte Folded Spill
	;; [unrolled: 1-line block ×4, first 2 shown]
	global_load_dwordx4 v[95:98], v[95:96], off
	ds_write_b128 v44, v[0:3]
	ds_write_b128 v44, v[4:7] offset:36864
	ds_write_b128 v44, v[8:11] offset:9216
	;; [unrolled: 1-line block ×20, first 2 shown]
	s_load_dwordx4 s[0:3], s[2:3], 0x0
	s_waitcnt vmcnt(0)
	v_mul_f64 v[45:46], v[97:98], v[103:104]
	v_mul_f64 v[99:100], v[95:96], v[103:104]
	v_fma_f64 v[95:96], v[95:96], v[101:102], v[45:46]
	v_fma_f64 v[97:98], v[97:98], v[101:102], -v[99:100]
	ds_write_b128 v44, v[87:90] offset:34560
	ds_write_b128 v44, v[91:94] offset:43776
	;; [unrolled: 1-line block ×3, first 2 shown]
	s_waitcnt lgkmcnt(0)
	s_waitcnt_vscnt null, 0x0
	s_barrier
	buffer_gl0_inv
	ds_read_b128 v[0:3], v44
	ds_read_b128 v[4:7], v44 offset:18432
	ds_read_b128 v[8:11], v44 offset:36864
	s_waitcnt lgkmcnt(1)
	v_add_f64 v[12:13], v[0:1], v[4:5]
	v_add_f64 v[14:15], v[2:3], v[6:7]
	s_waitcnt lgkmcnt(0)
	v_add_f64 v[16:17], v[4:5], v[8:9]
	v_add_f64 v[18:19], v[6:7], v[10:11]
	v_add_f64 v[32:33], v[6:7], -v[10:11]
	v_add_f64 v[34:35], v[4:5], -v[8:9]
	v_add_f64 v[24:25], v[12:13], v[8:9]
	v_add_f64 v[26:27], v[14:15], v[10:11]
	v_fma_f64 v[36:37], v[16:17], -0.5, v[0:1]
	v_fma_f64 v[38:39], v[18:19], -0.5, v[2:3]
	ds_read_b128 v[0:3], v44 offset:9216
	ds_read_b128 v[4:7], v44 offset:27648
	ds_read_b128 v[8:11], v44 offset:46080
	s_waitcnt lgkmcnt(1)
	v_add_f64 v[12:13], v[0:1], v[4:5]
	v_add_f64 v[14:15], v[2:3], v[6:7]
	s_waitcnt lgkmcnt(0)
	v_add_f64 v[16:17], v[4:5], v[8:9]
	v_add_f64 v[18:19], v[6:7], v[10:11]
	v_add_f64 v[40:41], v[6:7], -v[10:11]
	v_add_f64 v[42:43], v[4:5], -v[8:9]
	v_add_f64 v[28:29], v[12:13], v[8:9]
	v_add_f64 v[30:31], v[14:15], v[10:11]
	v_fma_f64 v[45:46], v[16:17], -0.5, v[0:1]
	v_fma_f64 v[47:48], v[18:19], -0.5, v[2:3]
	ds_read_b128 v[0:3], v44 offset:2304
	ds_read_b128 v[4:7], v44 offset:20736
	ds_read_b128 v[8:11], v44 offset:39168
	s_waitcnt lgkmcnt(1)
	v_add_f64 v[12:13], v[0:1], v[4:5]
	v_add_f64 v[14:15], v[2:3], v[6:7]
	s_waitcnt lgkmcnt(0)
	v_add_f64 v[16:17], v[4:5], v[8:9]
	v_add_f64 v[18:19], v[6:7], v[10:11]
	v_add_f64 v[49:50], v[6:7], -v[10:11]
	v_add_f64 v[51:52], v[4:5], -v[8:9]
	v_add_f64 v[53:54], v[12:13], v[8:9]
	v_add_f64 v[55:56], v[14:15], v[10:11]
	v_fma_f64 v[57:58], v[16:17], -0.5, v[0:1]
	v_fma_f64 v[59:60], v[18:19], -0.5, v[2:3]
	ds_read_b128 v[0:3], v44 offset:11520
	ds_read_b128 v[4:7], v44 offset:29952
	ds_read_b128 v[8:11], v44 offset:48384
	s_waitcnt lgkmcnt(1)
	v_add_f64 v[12:13], v[0:1], v[4:5]
	s_waitcnt lgkmcnt(0)
	v_add_f64 v[16:17], v[4:5], v[8:9]
	v_add_f64 v[18:19], v[6:7], v[10:11]
	;; [unrolled: 1-line block ×3, first 2 shown]
	v_add_f64 v[61:62], v[6:7], -v[10:11]
	v_add_f64 v[63:64], v[4:5], -v[8:9]
	v_add_f64 v[65:66], v[12:13], v[8:9]
	v_fma_f64 v[69:70], v[16:17], -0.5, v[0:1]
	v_fma_f64 v[71:72], v[18:19], -0.5, v[2:3]
	ds_read_b128 v[0:3], v44 offset:4608
	ds_read_b128 v[4:7], v44 offset:23040
	v_add_f64 v[67:68], v[14:15], v[10:11]
	ds_read_b128 v[8:11], v44 offset:41472
	s_waitcnt lgkmcnt(1)
	v_add_f64 v[12:13], v[0:1], v[4:5]
	v_add_f64 v[14:15], v[2:3], v[6:7]
	s_waitcnt lgkmcnt(0)
	v_add_f64 v[73:74], v[4:5], v[8:9]
	v_add_f64 v[75:76], v[6:7], -v[10:11]
	v_add_f64 v[77:78], v[6:7], v[10:11]
	v_add_f64 v[79:80], v[4:5], -v[8:9]
	v_add_f64 v[81:82], v[12:13], v[8:9]
	v_add_f64 v[83:84], v[14:15], v[10:11]
	ds_read_b128 v[4:7], v44 offset:13824
	ds_read_b128 v[8:11], v44 offset:32256
	ds_read_b128 v[12:15], v44 offset:50688
	v_fma_f64 v[73:74], v[73:74], -0.5, v[0:1]
	v_fma_f64 v[77:78], v[77:78], -0.5, v[2:3]
	v_add_f64 v[0:1], v[24:25], v[28:29]
	v_add_f64 v[2:3], v[26:27], v[30:31]
	s_waitcnt lgkmcnt(1)
	v_add_f64 v[16:17], v[4:5], v[8:9]
	v_add_f64 v[18:19], v[6:7], v[10:11]
	s_waitcnt lgkmcnt(0)
	v_add_f64 v[85:86], v[8:9], v[12:13]
	v_add_f64 v[87:88], v[10:11], -v[14:15]
	v_add_f64 v[89:90], v[10:11], v[14:15]
	v_add_f64 v[91:92], v[8:9], -v[12:13]
	v_add_f64 v[93:94], v[16:17], v[12:13]
	v_add_f64 v[95:96], v[18:19], v[14:15]
	ds_read_b128 v[8:11], v44 offset:6912
	ds_read_b128 v[12:15], v44 offset:25344
	;; [unrolled: 1-line block ×3, first 2 shown]
	v_fma_f64 v[85:86], v[85:86], -0.5, v[4:5]
	v_fma_f64 v[89:90], v[89:90], -0.5, v[6:7]
	v_add_f64 v[4:5], v[24:25], -v[28:29]
	v_add_f64 v[6:7], v[26:27], -v[30:31]
	s_waitcnt lgkmcnt(1)
	v_add_f64 v[20:21], v[8:9], v[12:13]
	v_add_f64 v[22:23], v[10:11], v[14:15]
	s_waitcnt lgkmcnt(0)
	v_add_f64 v[97:98], v[12:13], v[16:17]
	v_add_f64 v[99:100], v[14:15], -v[18:19]
	v_add_f64 v[101:102], v[14:15], v[18:19]
	v_add_f64 v[103:104], v[12:13], -v[16:17]
	v_add_f64 v[105:106], v[20:21], v[16:17]
	v_add_f64 v[107:108], v[22:23], v[18:19]
	ds_read_b128 v[12:15], v44 offset:16128
	ds_read_b128 v[16:19], v44 offset:34560
	;; [unrolled: 1-line block ×3, first 2 shown]
	v_fma_f64 v[97:98], v[97:98], -0.5, v[8:9]
	v_add_f64 v[8:9], v[53:54], v[65:66]
	s_waitcnt lgkmcnt(0)
	s_barrier
	buffer_gl0_inv
	v_fma_f64 v[101:102], v[101:102], -0.5, v[10:11]
	v_add_f64 v[10:11], v[55:56], v[67:68]
	v_add_f64 v[109:110], v[12:13], v[16:17]
	;; [unrolled: 1-line block ×3, first 2 shown]
	v_add_f64 v[123:124], v[16:17], -v[20:21]
	v_add_f64 v[16:17], v[81:82], v[93:94]
	v_add_f64 v[115:116], v[18:19], v[22:23]
	;; [unrolled: 1-line block ×3, first 2 shown]
	v_add_f64 v[117:118], v[18:19], -v[22:23]
	v_add_f64 v[18:19], v[83:84], v[95:96]
	v_add_f64 v[109:110], v[109:110], v[20:21]
	v_fma_f64 v[113:114], v[113:114], -0.5, v[12:13]
	v_add_f64 v[12:13], v[53:54], -v[65:66]
	v_mul_lo_u16 v53, v120, 6
	v_add_f64 v[20:21], v[81:82], -v[93:94]
	v_fma_f64 v[115:116], v[115:116], -0.5, v[14:15]
	v_add_f64 v[14:15], v[55:56], -v[67:68]
	v_fma_f64 v[55:56], v[34:35], s[8:9], v[38:39]
	v_lshlrev_b32_sdwa v93, v122, v53 dst_sel:DWORD dst_unused:UNUSED_PAD src0_sel:DWORD src1_sel:WORD_0
	ds_write_b128 v93, v[0:3]
	ds_write_b128 v93, v[4:7] offset:48
	v_fma_f64 v[2:3], v[40:41], s[6:7], v[45:46]
	v_fma_f64 v[40:41], v[40:41], s[8:9], v[45:46]
	;; [unrolled: 1-line block ×10, first 2 shown]
	v_add_f64 v[111:112], v[111:112], v[22:23]
	v_add_f64 v[22:23], v[83:84], -v[95:96]
	v_fma_f64 v[83:84], v[103:104], s[8:9], v[101:102]
	buffer_store_dword v93, off, s[20:23], 0 offset:496 ; 4-byte Folded Spill
	v_add_f64 v[24:25], v[105:106], v[109:110]
	v_add_f64 v[28:29], v[105:106], -v[109:110]
	v_mul_f64 v[34:35], v[40:41], -0.5
	v_mul_f64 v[4:5], v[0:1], s[6:7]
	v_add_f64 v[26:27], v[107:108], v[111:112]
	v_add_f64 v[30:31], v[107:108], -v[111:112]
	v_fma_f64 v[42:43], v[32:33], s[6:7], v[34:35]
	v_mul_f64 v[32:33], v[32:33], -0.5
	v_fma_f64 v[4:5], v[2:3], 0.5, v[4:5]
	v_mul_f64 v[2:3], v[2:3], s[8:9]
	v_fma_f64 v[40:41], v[40:41], s[8:9], v[32:33]
	v_add_f64 v[32:33], v[36:37], v[42:43]
	v_add_f64 v[36:37], v[36:37], -v[42:43]
	v_fma_f64 v[42:43], v[61:62], s[6:7], v[69:70]
	v_fma_f64 v[6:7], v[0:1], 0.5, v[2:3]
	v_add_f64 v[0:1], v[53:54], v[4:5]
	v_add_f64 v[4:5], v[53:54], -v[4:5]
	v_fma_f64 v[53:54], v[49:50], s[6:7], v[57:58]
	v_add_f64 v[34:35], v[38:39], v[40:41]
	v_add_f64 v[38:39], v[38:39], -v[40:41]
	v_fma_f64 v[40:41], v[63:64], s[8:9], v[71:72]
	;; [unrolled: 3-line block ×3, first 2 shown]
	ds_write_b128 v93, v[0:3] offset:16
	ds_write_b128 v93, v[32:35] offset:32
	;; [unrolled: 1-line block ×4, first 2 shown]
	v_mul_f64 v[45:46], v[40:41], s[6:7]
	v_mul_u32_u24_e32 v0, 6, v121
	v_lshlrev_b32_e32 v0, 4, v0
	buffer_store_dword v0, off, s[20:23], 0 offset:492 ; 4-byte Folded Spill
	v_fma_f64 v[45:46], v[42:43], 0.5, v[45:46]
	v_mul_f64 v[42:43], v[42:43], s[8:9]
	v_fma_f64 v[47:48], v[40:41], 0.5, v[42:43]
	v_add_f64 v[40:41], v[53:54], v[45:46]
	v_add_f64 v[45:46], v[53:54], -v[45:46]
	v_fma_f64 v[53:54], v[61:62], s[8:9], v[69:70]
	v_fma_f64 v[69:70], v[75:76], s[8:9], v[73:74]
	v_add_f64 v[42:43], v[55:56], v[47:48]
	v_add_f64 v[47:48], v[55:56], -v[47:48]
	v_fma_f64 v[55:56], v[49:50], s[8:9], v[57:58]
	v_fma_f64 v[57:58], v[51:52], s[6:7], v[59:60]
	;; [unrolled: 1-line block ×3, first 2 shown]
	v_mul_f64 v[51:52], v[53:54], -0.5
	v_fma_f64 v[71:72], v[79:80], s[6:7], v[77:78]
	v_fma_f64 v[59:60], v[49:50], s[6:7], v[51:52]
	v_mul_f64 v[49:50], v[49:50], -0.5
	v_fma_f64 v[61:62], v[53:54], s[8:9], v[49:50]
	v_add_f64 v[49:50], v[55:56], v[59:60]
	v_add_f64 v[53:54], v[55:56], -v[59:60]
	v_fma_f64 v[59:60], v[87:88], s[6:7], v[85:86]
	v_add_f64 v[51:52], v[57:58], v[61:62]
	v_add_f64 v[55:56], v[57:58], -v[61:62]
	v_fma_f64 v[57:58], v[91:92], s[8:9], v[89:90]
	ds_write_b128 v0, v[8:11]
	ds_write_b128 v0, v[40:43] offset:16
	ds_write_b128 v0, v[49:52] offset:32
	;; [unrolled: 1-line block ×5, first 2 shown]
	v_add_co_u32 v45, null, 0x120, v119
	v_mul_f64 v[61:62], v[57:58], s[6:7]
	v_mul_u32_u24_e32 v0, 6, v45
	v_lshlrev_b32_e32 v0, 4, v0
	buffer_store_dword v0, off, s[20:23], 0 offset:488 ; 4-byte Folded Spill
	v_fma_f64 v[61:62], v[59:60], 0.5, v[61:62]
	v_mul_f64 v[59:60], v[59:60], s[8:9]
	v_fma_f64 v[63:64], v[57:58], 0.5, v[59:60]
	v_add_f64 v[57:58], v[65:66], v[61:62]
	v_add_f64 v[61:62], v[65:66], -v[61:62]
	v_fma_f64 v[65:66], v[87:88], s[8:9], v[85:86]
	v_fma_f64 v[85:86], v[99:100], s[8:9], v[97:98]
	;; [unrolled: 1-line block ×3, first 2 shown]
	v_add_f64 v[59:60], v[67:68], v[63:64]
	v_add_f64 v[63:64], v[67:68], -v[63:64]
	v_fma_f64 v[67:68], v[91:92], s[6:7], v[89:90]
	v_mul_f64 v[73:74], v[65:66], -0.5
	v_fma_f64 v[73:74], v[67:68], s[6:7], v[73:74]
	v_mul_f64 v[67:68], v[67:68], -0.5
	v_fma_f64 v[75:76], v[65:66], s[8:9], v[67:68]
	v_add_f64 v[65:66], v[69:70], v[73:74]
	v_add_f64 v[69:70], v[69:70], -v[73:74]
	v_fma_f64 v[73:74], v[123:124], s[8:9], v[115:116]
	v_add_f64 v[67:68], v[71:72], v[75:76]
	v_add_f64 v[71:72], v[71:72], -v[75:76]
	v_fma_f64 v[75:76], v[117:118], s[6:7], v[113:114]
	v_mul_f64 v[77:78], v[73:74], s[6:7]
	ds_write_b128 v0, v[16:19]
	ds_write_b128 v0, v[57:60] offset:16
	ds_write_b128 v0, v[65:68] offset:32
	;; [unrolled: 1-line block ×5, first 2 shown]
	v_fma_f64 v[77:78], v[75:76], 0.5, v[77:78]
	v_mul_f64 v[75:76], v[75:76], s[8:9]
	v_fma_f64 v[79:80], v[73:74], 0.5, v[75:76]
	v_add_f64 v[73:74], v[81:82], v[77:78]
	v_add_f64 v[77:78], v[81:82], -v[77:78]
	v_fma_f64 v[81:82], v[117:118], s[8:9], v[113:114]
	v_add_f64 v[75:76], v[83:84], v[79:80]
	v_add_f64 v[79:80], v[83:84], -v[79:80]
	v_fma_f64 v[83:84], v[123:124], s[6:7], v[115:116]
	v_mul_f64 v[89:90], v[81:82], -0.5
	v_add_co_u32 v123, null, 0x1b0, v119
	v_and_b32_e32 v124, 0xff, v120
	v_mul_u32_u24_e32 v0, 6, v123
	v_lshlrev_b32_e32 v1, 4, v0
	v_mul_lo_u16 v0, 0xab, v124
	buffer_store_dword v1, off, s[20:23], 0 offset:484 ; 4-byte Folded Spill
	v_lshrrev_b16 v125, 10, v0
	v_fma_f64 v[89:90], v[83:84], s[6:7], v[89:90]
	v_mul_f64 v[83:84], v[83:84], -0.5
	v_mul_lo_u16 v0, v125, 6
	v_sub_nc_u16 v0, v120, v0
	v_and_b32_e32 v126, 0xff, v0
	v_mad_u64_u32 v[4:5], null, 0x50, v126, s[10:11]
	v_fma_f64 v[91:92], v[81:82], s[8:9], v[83:84]
	v_add_f64 v[81:82], v[85:86], v[89:90]
	v_add_f64 v[85:86], v[85:86], -v[89:90]
	v_add_f64 v[83:84], v[87:88], v[91:92]
	v_add_f64 v[87:88], v[87:88], -v[91:92]
	ds_write_b128 v1, v[24:27]
	ds_write_b128 v1, v[73:76] offset:16
	ds_write_b128 v1, v[81:84] offset:32
	;; [unrolled: 1-line block ×5, first 2 shown]
	s_waitcnt lgkmcnt(0)
	s_waitcnt_vscnt null, 0x0
	s_barrier
	buffer_gl0_inv
	global_load_dwordx4 v[8:11], v[4:5], off
	s_waitcnt vmcnt(0)
	buffer_store_dword v8, off, s[20:23], 0 offset:404 ; 4-byte Folded Spill
	buffer_store_dword v9, off, s[20:23], 0 offset:408 ; 4-byte Folded Spill
	buffer_store_dword v10, off, s[20:23], 0 offset:412 ; 4-byte Folded Spill
	buffer_store_dword v11, off, s[20:23], 0 offset:416 ; 4-byte Folded Spill
	ds_read_b128 v[0:3], v44 offset:9216
	s_waitcnt lgkmcnt(0)
	v_mul_f64 v[6:7], v[2:3], v[10:11]
	v_fma_f64 v[24:25], v[0:1], v[8:9], -v[6:7]
	v_mul_f64 v[0:1], v[0:1], v[10:11]
	v_fma_f64 v[26:27], v[2:3], v[8:9], v[0:1]
	global_load_dwordx4 v[8:11], v[4:5], off offset:16
	s_waitcnt vmcnt(0)
	buffer_store_dword v8, off, s[20:23], 0 offset:420 ; 4-byte Folded Spill
	buffer_store_dword v9, off, s[20:23], 0 offset:424 ; 4-byte Folded Spill
	buffer_store_dword v10, off, s[20:23], 0 offset:428 ; 4-byte Folded Spill
	buffer_store_dword v11, off, s[20:23], 0 offset:432 ; 4-byte Folded Spill
	ds_read_b128 v[0:3], v44 offset:18432
	s_waitcnt lgkmcnt(0)
	v_mul_f64 v[6:7], v[2:3], v[10:11]
	v_fma_f64 v[28:29], v[0:1], v[8:9], -v[6:7]
	v_mul_f64 v[0:1], v[0:1], v[10:11]
	v_fma_f64 v[30:31], v[2:3], v[8:9], v[0:1]
	global_load_dwordx4 v[8:11], v[4:5], off offset:32
	;; [unrolled: 12-line block ×4, first 2 shown]
	s_waitcnt vmcnt(0)
	buffer_store_dword v6, off, s[20:23], 0 offset:468 ; 4-byte Folded Spill
	buffer_store_dword v7, off, s[20:23], 0 offset:472 ; 4-byte Folded Spill
	;; [unrolled: 1-line block ×4, first 2 shown]
	ds_read_b128 v[0:3], v44 offset:46080
	s_waitcnt lgkmcnt(0)
	v_mul_f64 v[4:5], v[2:3], v[8:9]
	v_fma_f64 v[42:43], v[0:1], v[6:7], -v[4:5]
	v_mul_f64 v[0:1], v[0:1], v[8:9]
	v_fma_f64 v[40:41], v[2:3], v[6:7], v[0:1]
	v_mov_b32_e32 v0, 0xaaab
	v_mul_u32_u24_sdwa v1, v121, v0 dst_sel:DWORD dst_unused:UNUSED_PAD src0_sel:WORD_0 src1_sel:DWORD
	v_lshrrev_b32_e32 v127, 18, v1
	v_mul_lo_u16 v1, v127, 6
	v_sub_nc_u16 v128, v121, v1
	v_mul_lo_u16 v1, 0x50, v128
	v_and_b32_e32 v1, 0xffff, v1
	v_add_co_u32 v5, s12, s10, v1
	v_add_co_ci_u32_e64 v6, null, s11, 0, s12
	global_load_dwordx4 v[9:12], v[5:6], off
	s_waitcnt vmcnt(0)
	buffer_store_dword v9, off, s[20:23], 0 offset:508 ; 4-byte Folded Spill
	buffer_store_dword v10, off, s[20:23], 0 offset:512 ; 4-byte Folded Spill
	buffer_store_dword v11, off, s[20:23], 0 offset:516 ; 4-byte Folded Spill
	buffer_store_dword v12, off, s[20:23], 0 offset:520 ; 4-byte Folded Spill
	ds_read_b128 v[1:4], v44 offset:11520
	s_waitcnt lgkmcnt(0)
	v_mul_f64 v[7:8], v[3:4], v[11:12]
	v_fma_f64 v[118:119], v[1:2], v[9:10], -v[7:8]
	v_mul_f64 v[1:2], v[1:2], v[11:12]
	v_fma_f64 v[46:47], v[3:4], v[9:10], v[1:2]
	global_load_dwordx4 v[9:12], v[5:6], off offset:16
	s_waitcnt vmcnt(0)
	buffer_store_dword v9, off, s[20:23], 0 offset:524 ; 4-byte Folded Spill
	buffer_store_dword v10, off, s[20:23], 0 offset:528 ; 4-byte Folded Spill
	buffer_store_dword v11, off, s[20:23], 0 offset:532 ; 4-byte Folded Spill
	buffer_store_dword v12, off, s[20:23], 0 offset:536 ; 4-byte Folded Spill
	ds_read_b128 v[1:4], v44 offset:20736
	s_waitcnt lgkmcnt(0)
	v_mul_f64 v[7:8], v[3:4], v[11:12]
	v_fma_f64 v[48:49], v[1:2], v[9:10], -v[7:8]
	v_mul_f64 v[1:2], v[1:2], v[11:12]
	v_fma_f64 v[50:51], v[3:4], v[9:10], v[1:2]
	global_load_dwordx4 v[9:12], v[5:6], off offset:32
	;; [unrolled: 12-line block ×4, first 2 shown]
	s_waitcnt vmcnt(0)
	buffer_store_dword v7, off, s[20:23], 0 offset:576 ; 4-byte Folded Spill
	buffer_store_dword v8, off, s[20:23], 0 offset:580 ; 4-byte Folded Spill
	;; [unrolled: 1-line block ×4, first 2 shown]
	ds_read_b128 v[1:4], v44 offset:48384
	s_waitcnt lgkmcnt(0)
	v_mul_f64 v[5:6], v[3:4], v[9:10]
	v_fma_f64 v[62:63], v[1:2], v[7:8], -v[5:6]
	v_mul_f64 v[1:2], v[1:2], v[9:10]
	v_fma_f64 v[60:61], v[3:4], v[7:8], v[1:2]
	v_mul_u32_u24_sdwa v1, v45, v0 dst_sel:DWORD dst_unused:UNUSED_PAD src0_sel:WORD_0 src1_sel:DWORD
	v_mul_u32_u24_sdwa v0, v123, v0 dst_sel:DWORD dst_unused:UNUSED_PAD src0_sel:WORD_0 src1_sel:DWORD
	v_lshrrev_b32_e32 v129, 18, v1
	v_lshrrev_b32_e32 v131, 18, v0
	v_mul_lo_u16 v1, v129, 6
	v_mul_lo_u16 v0, v131, 6
	v_sub_nc_u16 v130, v45, v1
	v_sub_nc_u16 v132, v123, v0
	v_mul_lo_u16 v1, 0x50, v130
	v_mul_lo_u16 v0, 0x50, v132
	v_and_b32_e32 v1, 0xffff, v1
	v_and_b32_e32 v0, 0xffff, v0
	v_add_co_u32 v5, s12, s10, v1
	v_add_co_ci_u32_e64 v6, null, s11, 0, s12
	global_load_dwordx4 v[9:12], v[5:6], off
	s_waitcnt vmcnt(0)
	buffer_store_dword v9, off, s[20:23], 0 offset:592 ; 4-byte Folded Spill
	buffer_store_dword v10, off, s[20:23], 0 offset:596 ; 4-byte Folded Spill
	buffer_store_dword v11, off, s[20:23], 0 offset:600 ; 4-byte Folded Spill
	buffer_store_dword v12, off, s[20:23], 0 offset:604 ; 4-byte Folded Spill
	ds_read_b128 v[1:4], v44 offset:13824
	s_waitcnt lgkmcnt(0)
	v_mul_f64 v[7:8], v[3:4], v[11:12]
	v_fma_f64 v[64:65], v[1:2], v[9:10], -v[7:8]
	v_mul_f64 v[1:2], v[1:2], v[11:12]
	v_fma_f64 v[66:67], v[3:4], v[9:10], v[1:2]
	global_load_dwordx4 v[9:12], v[5:6], off offset:16
	s_waitcnt vmcnt(0)
	buffer_store_dword v9, off, s[20:23], 0 offset:608 ; 4-byte Folded Spill
	buffer_store_dword v10, off, s[20:23], 0 offset:612 ; 4-byte Folded Spill
	buffer_store_dword v11, off, s[20:23], 0 offset:616 ; 4-byte Folded Spill
	buffer_store_dword v12, off, s[20:23], 0 offset:620 ; 4-byte Folded Spill
	ds_read_b128 v[1:4], v44 offset:23040
	s_waitcnt lgkmcnt(0)
	v_mul_f64 v[7:8], v[3:4], v[11:12]
	v_fma_f64 v[70:71], v[1:2], v[9:10], -v[7:8]
	v_mul_f64 v[1:2], v[1:2], v[11:12]
	v_fma_f64 v[72:73], v[3:4], v[9:10], v[1:2]
	global_load_dwordx4 v[9:12], v[5:6], off offset:32
	;; [unrolled: 12-line block ×4, first 2 shown]
	s_waitcnt vmcnt(0)
	buffer_store_dword v7, off, s[20:23], 0 offset:656 ; 4-byte Folded Spill
	buffer_store_dword v8, off, s[20:23], 0 offset:660 ; 4-byte Folded Spill
	;; [unrolled: 1-line block ×4, first 2 shown]
	ds_read_b128 v[1:4], v44 offset:50688
	s_waitcnt lgkmcnt(0)
	v_mul_f64 v[5:6], v[3:4], v[9:10]
	v_fma_f64 v[98:99], v[1:2], v[7:8], -v[5:6]
	v_mul_f64 v[1:2], v[1:2], v[9:10]
	v_fma_f64 v[94:95], v[3:4], v[7:8], v[1:2]
	v_add_co_u32 v4, s12, s10, v0
	v_add_co_ci_u32_e64 v5, null, s11, 0, s12
	global_load_dwordx4 v[8:11], v[4:5], off
	s_waitcnt vmcnt(0)
	buffer_store_dword v8, off, s[20:23], 0 offset:676 ; 4-byte Folded Spill
	buffer_store_dword v9, off, s[20:23], 0 offset:680 ; 4-byte Folded Spill
	buffer_store_dword v10, off, s[20:23], 0 offset:684 ; 4-byte Folded Spill
	buffer_store_dword v11, off, s[20:23], 0 offset:688 ; 4-byte Folded Spill
	ds_read_b128 v[0:3], v44 offset:16128
	s_waitcnt lgkmcnt(0)
	v_mul_f64 v[6:7], v[2:3], v[10:11]
	v_fma_f64 v[68:69], v[0:1], v[8:9], -v[6:7]
	v_mul_f64 v[0:1], v[0:1], v[10:11]
	v_fma_f64 v[74:75], v[2:3], v[8:9], v[0:1]
	global_load_dwordx4 v[8:11], v[4:5], off offset:16
	s_waitcnt vmcnt(0)
	buffer_store_dword v8, off, s[20:23], 0 offset:692 ; 4-byte Folded Spill
	buffer_store_dword v9, off, s[20:23], 0 offset:696 ; 4-byte Folded Spill
	buffer_store_dword v10, off, s[20:23], 0 offset:700 ; 4-byte Folded Spill
	buffer_store_dword v11, off, s[20:23], 0 offset:704 ; 4-byte Folded Spill
	ds_read_b128 v[0:3], v44 offset:25344
	s_waitcnt lgkmcnt(0)
	v_mul_f64 v[6:7], v[2:3], v[10:11]
	v_fma_f64 v[76:77], v[0:1], v[8:9], -v[6:7]
	v_mul_f64 v[0:1], v[0:1], v[10:11]
	v_fma_f64 v[80:81], v[2:3], v[8:9], v[0:1]
	global_load_dwordx4 v[8:11], v[4:5], off offset:32
	;; [unrolled: 12-line block ×4, first 2 shown]
	s_waitcnt vmcnt(0)
	buffer_store_dword v6, off, s[20:23], 0 offset:740 ; 4-byte Folded Spill
	buffer_store_dword v7, off, s[20:23], 0 offset:744 ; 4-byte Folded Spill
	;; [unrolled: 1-line block ×4, first 2 shown]
	ds_read_b128 v[0:3], v44 offset:52992
	v_add_f64 v[137:138], v[80:81], v[96:97]
	s_waitcnt lgkmcnt(0)
	v_mul_f64 v[4:5], v[2:3], v[8:9]
	v_fma_f64 v[102:103], v[0:1], v[6:7], -v[4:5]
	v_mul_f64 v[0:1], v[0:1], v[8:9]
	v_add_f64 v[4:5], v[28:29], v[36:37]
	v_add_f64 v[8:9], v[70:71], v[84:85]
	v_fma_f64 v[100:101], v[2:3], v[6:7], v[0:1]
	ds_read_b128 v[0:3], v44
	v_add_f64 v[6:7], v[26:27], v[32:33]
	s_waitcnt lgkmcnt(0)
	v_fma_f64 v[112:113], v[4:5], -0.5, v[0:1]
	v_add_f64 v[4:5], v[30:31], v[38:39]
	v_add_f64 v[0:1], v[0:1], v[28:29]
	;; [unrolled: 1-line block ×3, first 2 shown]
	v_add_f64 v[28:29], v[28:29], -v[36:37]
	v_fma_f64 v[114:115], v[4:5], -0.5, v[2:3]
	v_add_f64 v[4:5], v[24:25], v[34:35]
	v_add_f64 v[2:3], v[2:3], v[30:31]
	;; [unrolled: 1-line block ×3, first 2 shown]
	v_add_f64 v[30:31], v[30:31], -v[38:39]
	v_add_f64 v[4:5], v[4:5], v[42:43]
	v_add_f64 v[2:3], v[2:3], v[38:39]
	v_fma_f64 v[38:39], v[28:29], s[8:9], v[114:115]
	v_fma_f64 v[36:37], v[30:31], s[6:7], v[112:113]
	;; [unrolled: 1-line block ×3, first 2 shown]
	v_add_f64 v[20:21], v[0:1], v[4:5]
	v_add_f64 v[16:17], v[0:1], -v[4:5]
	v_add_f64 v[4:5], v[48:49], v[56:57]
	v_add_f64 v[22:23], v[2:3], v[6:7]
	v_add_f64 v[18:19], v[2:3], -v[6:7]
	ds_read_b128 v[0:3], v44 offset:2304
	v_add_f64 v[6:7], v[46:47], v[52:53]
	s_waitcnt lgkmcnt(0)
	v_fma_f64 v[108:109], v[4:5], -0.5, v[0:1]
	v_add_f64 v[4:5], v[50:51], v[58:59]
	v_add_f64 v[0:1], v[0:1], v[48:49]
	;; [unrolled: 1-line block ×3, first 2 shown]
	v_add_f64 v[48:49], v[48:49], -v[56:57]
	v_fma_f64 v[110:111], v[4:5], -0.5, v[2:3]
	v_add_f64 v[2:3], v[2:3], v[50:51]
	v_add_f64 v[4:5], v[118:119], v[54:55]
	;; [unrolled: 1-line block ×3, first 2 shown]
	v_fma_f64 v[56:57], v[48:49], s[8:9], v[110:111]
	v_add_f64 v[2:3], v[2:3], v[58:59]
	v_add_f64 v[4:5], v[4:5], v[62:63]
	v_fma_f64 v[48:49], v[48:49], s[6:7], v[110:111]
	v_add_f64 v[14:15], v[2:3], v[6:7]
	v_add_f64 v[12:13], v[0:1], v[4:5]
	v_add_f64 v[0:1], v[0:1], -v[4:5]
	v_add_f64 v[2:3], v[2:3], -v[6:7]
	ds_read_b128 v[4:7], v44 offset:4608
	s_waitcnt lgkmcnt(0)
	v_fma_f64 v[104:105], v[8:9], -0.5, v[4:5]
	v_add_f64 v[8:9], v[72:73], v[88:89]
	v_add_f64 v[4:5], v[4:5], v[70:71]
	v_fma_f64 v[106:107], v[8:9], -0.5, v[6:7]
	v_add_f64 v[8:9], v[64:65], v[82:83]
	v_add_f64 v[6:7], v[6:7], v[72:73]
	;; [unrolled: 1-line block ×8, first 2 shown]
	v_add_f64 v[4:5], v[4:5], -v[116:117]
	v_add_f64 v[116:117], v[76:77], v[92:93]
	v_add_f64 v[10:11], v[6:7], v[133:134]
	v_add_f64 v[6:7], v[6:7], -v[133:134]
	ds_read_b128 v[133:136], v44 offset:6912
	s_waitcnt lgkmcnt(0)
	s_waitcnt_vscnt null, 0x0
	s_barrier
	buffer_gl0_inv
	v_fma_f64 v[116:117], v[116:117], -0.5, v[133:134]
	v_add_f64 v[133:134], v[133:134], v[76:77]
	v_fma_f64 v[141:142], v[137:138], -0.5, v[135:136]
	v_add_f64 v[76:77], v[76:77], -v[92:93]
	v_add_f64 v[135:136], v[135:136], v[80:81]
	v_add_f64 v[80:81], v[80:81], -v[96:97]
	v_add_f64 v[137:138], v[133:134], v[92:93]
	v_add_f64 v[133:134], v[68:69], v[90:91]
	v_add_f64 v[139:140], v[135:136], v[96:97]
	v_add_f64 v[143:144], v[133:134], v[102:103]
	v_add_f64 v[133:134], v[74:75], v[86:87]
	v_add_f64 v[145:146], v[133:134], v[100:101]
	v_add_f64 v[133:134], v[137:138], v[143:144]
	v_add_f64 v[137:138], v[137:138], -v[143:144]
	v_mov_b32_e32 v143, 36
	v_mul_u32_u24_sdwa v125, v125, v143 dst_sel:DWORD dst_unused:UNUSED_PAD src0_sel:WORD_0 src1_sel:DWORD
	v_add_lshl_u32 v125, v125, v126, 4
	ds_write_b128 v125, v[20:23]
	ds_write_b128 v125, v[16:19] offset:288
	v_add_f64 v[16:17], v[34:35], v[42:43]
	v_add_f64 v[18:19], v[32:33], v[40:41]
	v_add_f64 v[32:33], v[32:33], -v[40:41]
	v_add_f64 v[34:35], v[34:35], -v[42:43]
	;; [unrolled: 1-line block ×3, first 2 shown]
	buffer_store_dword v125, off, s[20:23], 0 offset:672 ; 4-byte Folded Spill
	v_add_f64 v[135:136], v[139:140], v[145:146]
	v_add_f64 v[139:140], v[139:140], -v[145:146]
	v_fma_f64 v[24:25], v[16:17], -0.5, v[24:25]
	v_fma_f64 v[26:27], v[18:19], -0.5, v[26:27]
	v_fma_f64 v[18:19], v[32:33], s[6:7], v[24:25]
	v_fma_f64 v[24:25], v[32:33], s[8:9], v[24:25]
	v_fma_f64 v[16:17], v[34:35], s[8:9], v[26:27]
	v_fma_f64 v[32:33], v[28:29], s[6:7], v[114:115]
	v_fma_f64 v[26:27], v[34:35], s[6:7], v[26:27]
	v_mul_f64 v[28:29], v[24:25], -0.5
	v_mul_f64 v[20:21], v[16:17], s[6:7]
	v_fma_f64 v[28:29], v[26:27], s[6:7], v[28:29]
	v_mul_f64 v[26:27], v[26:27], -0.5
	v_fma_f64 v[20:21], v[18:19], 0.5, v[20:21]
	v_mul_f64 v[18:19], v[18:19], s[8:9]
	v_fma_f64 v[34:35], v[24:25], s[8:9], v[26:27]
	v_add_f64 v[24:25], v[30:31], v[28:29]
	v_add_f64 v[28:29], v[30:31], -v[28:29]
	v_fma_f64 v[22:23], v[16:17], 0.5, v[18:19]
	v_add_f64 v[16:17], v[36:37], v[20:21]
	v_add_f64 v[20:21], v[36:37], -v[20:21]
	v_add_f64 v[26:27], v[32:33], v[34:35]
	v_add_f64 v[30:31], v[32:33], -v[34:35]
	v_add_f64 v[32:33], v[54:55], v[62:63]
	v_add_f64 v[34:35], v[52:53], v[60:61]
	;; [unrolled: 1-line block ×3, first 2 shown]
	v_add_f64 v[22:23], v[38:39], -v[22:23]
	v_add_f64 v[62:63], v[72:73], -v[88:89]
	v_fma_f64 v[88:89], v[76:77], s[8:9], v[141:142]
	ds_write_b128 v125, v[16:19] offset:96
	ds_write_b128 v125, v[24:27] offset:192
	;; [unrolled: 1-line block ×4, first 2 shown]
	v_fma_f64 v[42:43], v[34:35], -0.5, v[46:47]
	v_add_f64 v[46:47], v[50:51], -v[58:59]
	v_add_f64 v[50:51], v[52:53], -v[60:61]
	v_fma_f64 v[52:53], v[32:33], -0.5, v[118:119]
	v_add_f64 v[58:59], v[82:83], -v[98:99]
	v_fma_f64 v[72:73], v[62:63], s[6:7], v[104:105]
	v_fma_f64 v[62:63], v[62:63], s[8:9], v[104:105]
	v_mad_u16 v16, v127, 36, v128
	v_lshlrev_b32_sdwa v16, v122, v16 dst_sel:DWORD dst_unused:UNUSED_PAD src0_sel:DWORD src1_sel:WORD_0
	buffer_store_dword v16, off, s[20:23], 0 offset:572 ; 4-byte Folded Spill
	v_fma_f64 v[32:33], v[40:41], s[8:9], v[42:43]
	v_fma_f64 v[40:41], v[40:41], s[6:7], v[42:43]
	;; [unrolled: 1-line block ×6, first 2 shown]
	v_mul_f64 v[36:37], v[32:33], s[6:7]
	v_mul_f64 v[42:43], v[50:51], -0.5
	v_fma_f64 v[36:37], v[34:35], 0.5, v[36:37]
	v_mul_f64 v[34:35], v[34:35], s[8:9]
	v_fma_f64 v[52:53], v[40:41], s[6:7], v[42:43]
	v_mul_f64 v[40:41], v[40:41], -0.5
	v_fma_f64 v[38:39], v[32:33], 0.5, v[34:35]
	v_add_f64 v[32:33], v[54:55], v[36:37]
	v_add_f64 v[36:37], v[54:55], -v[36:37]
	v_fma_f64 v[50:51], v[50:51], s[8:9], v[40:41]
	v_add_f64 v[40:41], v[46:47], v[52:53]
	v_add_f64 v[46:47], v[46:47], -v[52:53]
	v_add_f64 v[52:53], v[78:79], v[94:95]
	v_add_f64 v[34:35], v[56:57], v[38:39]
	v_add_f64 v[38:39], v[56:57], -v[38:39]
	v_add_f64 v[42:43], v[48:49], v[50:51]
	v_add_f64 v[48:49], v[48:49], -v[50:51]
	v_add_f64 v[50:51], v[82:83], v[98:99]
	v_fma_f64 v[60:61], v[52:53], -0.5, v[66:67]
	v_add_f64 v[66:67], v[70:71], -v[84:85]
	v_add_f64 v[70:71], v[78:79], -v[94:95]
	v_add_f64 v[82:83], v[86:87], -v[100:101]
	ds_write_b128 v16, v[12:15]
	ds_write_b128 v16, v[32:35] offset:96
	ds_write_b128 v16, v[40:43] offset:192
	;; [unrolled: 1-line block ×5, first 2 shown]
	v_mad_u16 v0, v129, 36, v130
	v_fma_f64 v[64:65], v[50:51], -0.5, v[64:65]
	v_fma_f64 v[50:51], v[58:59], s[8:9], v[60:61]
	v_fma_f64 v[58:59], v[58:59], s[6:7], v[60:61]
	;; [unrolled: 1-line block ×4, first 2 shown]
	v_lshlrev_b32_sdwa v0, v122, v0 dst_sel:DWORD dst_unused:UNUSED_PAD src0_sel:DWORD src1_sel:WORD_0
	buffer_store_dword v0, off, s[20:23], 0 offset:504 ; 4-byte Folded Spill
	v_fma_f64 v[52:53], v[70:71], s[6:7], v[64:65]
	v_fma_f64 v[64:65], v[70:71], s[8:9], v[64:65]
	v_mul_f64 v[54:55], v[50:51], s[6:7]
	v_mul_f64 v[60:61], v[64:65], -0.5
	v_fma_f64 v[54:55], v[52:53], 0.5, v[54:55]
	v_mul_f64 v[52:53], v[52:53], s[8:9]
	v_fma_f64 v[70:71], v[58:59], s[6:7], v[60:61]
	v_mul_f64 v[58:59], v[58:59], -0.5
	v_fma_f64 v[56:57], v[50:51], 0.5, v[52:53]
	v_add_f64 v[50:51], v[72:73], v[54:55]
	v_add_f64 v[54:55], v[72:73], -v[54:55]
	v_fma_f64 v[64:65], v[64:65], s[8:9], v[58:59]
	v_add_f64 v[58:59], v[62:63], v[70:71]
	v_add_f64 v[62:63], v[62:63], -v[70:71]
	v_add_f64 v[70:71], v[86:87], v[100:101]
	v_add_f64 v[52:53], v[78:79], v[56:57]
	v_add_f64 v[56:57], v[78:79], -v[56:57]
	v_add_f64 v[78:79], v[90:91], -v[102:103]
	v_fma_f64 v[86:87], v[80:81], s[6:7], v[116:117]
	v_fma_f64 v[80:81], v[80:81], s[8:9], v[116:117]
	v_add_f64 v[60:61], v[66:67], v[64:65]
	v_add_f64 v[64:65], v[66:67], -v[64:65]
	v_add_f64 v[66:67], v[90:91], v[102:103]
	v_fma_f64 v[74:75], v[70:71], -0.5, v[74:75]
	ds_write_b128 v0, v[8:11]
	ds_write_b128 v0, v[50:53] offset:96
	ds_write_b128 v0, v[58:61] offset:192
	;; [unrolled: 1-line block ×5, first 2 shown]
	v_mad_u16 v0, v131, 36, v132
	v_fma_f64 v[84:85], v[66:67], -0.5, v[68:69]
	v_fma_f64 v[66:67], v[78:79], s[8:9], v[74:75]
	v_fma_f64 v[74:75], v[78:79], s[6:7], v[74:75]
	v_lshlrev_b32_sdwa v0, v122, v0 dst_sel:DWORD dst_unused:UNUSED_PAD src0_sel:DWORD src1_sel:WORD_0
	buffer_store_dword v0, off, s[20:23], 0 offset:500 ; 4-byte Folded Spill
	v_fma_f64 v[68:69], v[82:83], s[6:7], v[84:85]
	v_fma_f64 v[82:83], v[82:83], s[8:9], v[84:85]
	v_mul_f64 v[70:71], v[66:67], s[6:7]
	v_fma_f64 v[84:85], v[76:77], s[6:7], v[141:142]
	v_mul_f64 v[76:77], v[82:83], -0.5
	v_fma_f64 v[70:71], v[68:69], 0.5, v[70:71]
	v_mul_f64 v[68:69], v[68:69], s[8:9]
	v_fma_f64 v[78:79], v[74:75], s[6:7], v[76:77]
	v_mul_f64 v[74:75], v[74:75], -0.5
	v_fma_f64 v[72:73], v[66:67], 0.5, v[68:69]
	v_add_f64 v[66:67], v[86:87], v[70:71]
	v_add_f64 v[70:71], v[86:87], -v[70:71]
	v_fma_f64 v[82:83], v[82:83], s[8:9], v[74:75]
	v_add_f64 v[68:69], v[88:89], v[72:73]
	v_add_f64 v[74:75], v[80:81], v[78:79]
	v_add_f64 v[72:73], v[88:89], -v[72:73]
	v_add_f64 v[78:79], v[80:81], -v[78:79]
	v_add_f64 v[76:77], v[84:85], v[82:83]
	v_add_f64 v[80:81], v[84:85], -v[82:83]
	ds_write_b128 v0, v[133:136]
	ds_write_b128 v0, v[66:69] offset:96
	ds_write_b128 v0, v[74:77] offset:192
	;; [unrolled: 1-line block ×5, first 2 shown]
	v_mul_lo_u16 v0, v124, 57
	s_waitcnt lgkmcnt(0)
	s_waitcnt_vscnt null, 0x0
	s_barrier
	buffer_gl0_inv
	v_lshrrev_b16 v130, 11, v0
	v_mul_lo_u16 v0, v130, 36
	v_sub_nc_u16 v0, v120, v0
	v_and_b32_e32 v131, 0xff, v0
	v_mad_u64_u32 v[4:5], null, 0x50, v131, s[10:11]
	global_load_dwordx4 v[8:11], v[4:5], off offset:480
	s_waitcnt vmcnt(0)
	buffer_store_dword v8, off, s[20:23], 0 offset:756 ; 4-byte Folded Spill
	buffer_store_dword v9, off, s[20:23], 0 offset:760 ; 4-byte Folded Spill
	buffer_store_dword v10, off, s[20:23], 0 offset:764 ; 4-byte Folded Spill
	buffer_store_dword v11, off, s[20:23], 0 offset:768 ; 4-byte Folded Spill
	ds_read_b128 v[0:3], v44 offset:9216
	s_waitcnt lgkmcnt(0)
	v_mul_f64 v[6:7], v[2:3], v[10:11]
	v_fma_f64 v[24:25], v[0:1], v[8:9], -v[6:7]
	v_mul_f64 v[0:1], v[0:1], v[10:11]
	v_fma_f64 v[26:27], v[2:3], v[8:9], v[0:1]
	global_load_dwordx4 v[8:11], v[4:5], off offset:496
	s_waitcnt vmcnt(0)
	buffer_store_dword v8, off, s[20:23], 0 offset:772 ; 4-byte Folded Spill
	buffer_store_dword v9, off, s[20:23], 0 offset:776 ; 4-byte Folded Spill
	buffer_store_dword v10, off, s[20:23], 0 offset:780 ; 4-byte Folded Spill
	buffer_store_dword v11, off, s[20:23], 0 offset:784 ; 4-byte Folded Spill
	ds_read_b128 v[0:3], v44 offset:18432
	s_waitcnt lgkmcnt(0)
	v_mul_f64 v[6:7], v[2:3], v[10:11]
	v_fma_f64 v[28:29], v[0:1], v[8:9], -v[6:7]
	v_mul_f64 v[0:1], v[0:1], v[10:11]
	v_fma_f64 v[30:31], v[2:3], v[8:9], v[0:1]
	;; [unrolled: 12-line block ×4, first 2 shown]
	global_load_dwordx4 v[6:9], v[4:5], off offset:544
	s_waitcnt vmcnt(0)
	buffer_store_dword v6, off, s[20:23], 0 offset:820 ; 4-byte Folded Spill
	buffer_store_dword v7, off, s[20:23], 0 offset:824 ; 4-byte Folded Spill
	;; [unrolled: 1-line block ×4, first 2 shown]
	ds_read_b128 v[0:3], v44 offset:46080
	s_waitcnt lgkmcnt(0)
	v_mul_f64 v[4:5], v[2:3], v[8:9]
	v_fma_f64 v[72:73], v[0:1], v[6:7], -v[4:5]
	v_mul_f64 v[0:1], v[0:1], v[8:9]
	v_mov_b32_e32 v8, 0xe38f
	v_fma_f64 v[64:65], v[2:3], v[6:7], v[0:1]
	v_mul_u32_u24_sdwa v0, v121, v8 dst_sel:DWORD dst_unused:UNUSED_PAD src0_sel:WORD_0 src1_sel:DWORD
	v_lshrrev_b32_e32 v124, 21, v0
	v_mul_lo_u16 v0, v124, 36
	v_sub_nc_u16 v125, v121, v0
	v_mul_lo_u16 v0, 0x50, v125
	v_and_b32_e32 v0, 0xffff, v0
	v_add_co_u32 v4, s12, s10, v0
	v_add_co_ci_u32_e64 v5, null, s11, 0, s12
	global_load_dwordx4 v[9:12], v[4:5], off offset:480
	s_waitcnt vmcnt(0)
	buffer_store_dword v9, off, s[20:23], 0 offset:836 ; 4-byte Folded Spill
	buffer_store_dword v10, off, s[20:23], 0 offset:840 ; 4-byte Folded Spill
	buffer_store_dword v11, off, s[20:23], 0 offset:844 ; 4-byte Folded Spill
	buffer_store_dword v12, off, s[20:23], 0 offset:848 ; 4-byte Folded Spill
	ds_read_b128 v[0:3], v44 offset:11520
	s_waitcnt lgkmcnt(0)
	v_mul_f64 v[6:7], v[2:3], v[11:12]
	v_fma_f64 v[32:33], v[0:1], v[9:10], -v[6:7]
	v_mul_f64 v[0:1], v[0:1], v[11:12]
	v_fma_f64 v[38:39], v[2:3], v[9:10], v[0:1]
	global_load_dwordx4 v[9:12], v[4:5], off offset:496
	s_waitcnt vmcnt(0)
	buffer_store_dword v9, off, s[20:23], 0 offset:852 ; 4-byte Folded Spill
	buffer_store_dword v10, off, s[20:23], 0 offset:856 ; 4-byte Folded Spill
	buffer_store_dword v11, off, s[20:23], 0 offset:860 ; 4-byte Folded Spill
	buffer_store_dword v12, off, s[20:23], 0 offset:864 ; 4-byte Folded Spill
	ds_read_b128 v[0:3], v44 offset:20736
	s_waitcnt lgkmcnt(0)
	v_mul_f64 v[6:7], v[2:3], v[11:12]
	v_fma_f64 v[42:43], v[0:1], v[9:10], -v[6:7]
	v_mul_f64 v[0:1], v[0:1], v[11:12]
	v_fma_f64 v[118:119], v[2:3], v[9:10], v[0:1]
	;; [unrolled: 12-line block ×5, first 2 shown]
	v_mul_u32_u24_sdwa v0, v45, v8 dst_sel:DWORD dst_unused:UNUSED_PAD src0_sel:WORD_0 src1_sel:DWORD
	v_lshrrev_b32_e32 v126, 21, v0
	v_mul_lo_u16 v0, v126, 36
	v_sub_nc_u16 v127, v45, v0
	v_mov_b32_e32 v45, 0xd8
	v_mul_lo_u16 v0, 0x50, v127
	v_mul_u32_u24_sdwa v45, v130, v45 dst_sel:DWORD dst_unused:UNUSED_PAD src0_sel:WORD_0 src1_sel:DWORD
	v_and_b32_e32 v0, 0xffff, v0
	v_add_lshl_u32 v130, v45, v131, 4
	v_add_co_u32 v4, s12, s10, v0
	v_add_co_ci_u32_e64 v5, null, s11, 0, s12
	global_load_dwordx4 v[9:12], v[4:5], off offset:480
	s_waitcnt vmcnt(0)
	buffer_store_dword v9, off, s[20:23], 0 offset:916 ; 4-byte Folded Spill
	buffer_store_dword v10, off, s[20:23], 0 offset:920 ; 4-byte Folded Spill
	buffer_store_dword v11, off, s[20:23], 0 offset:924 ; 4-byte Folded Spill
	buffer_store_dword v12, off, s[20:23], 0 offset:928 ; 4-byte Folded Spill
	ds_read_b128 v[0:3], v44 offset:13824
	s_waitcnt lgkmcnt(0)
	v_mul_f64 v[6:7], v[2:3], v[11:12]
	v_fma_f64 v[40:41], v[0:1], v[9:10], -v[6:7]
	v_mul_f64 v[0:1], v[0:1], v[11:12]
	v_fma_f64 v[46:47], v[2:3], v[9:10], v[0:1]
	global_load_dwordx4 v[9:12], v[4:5], off offset:496
	s_waitcnt vmcnt(0)
	buffer_store_dword v9, off, s[20:23], 0 offset:932 ; 4-byte Folded Spill
	buffer_store_dword v10, off, s[20:23], 0 offset:936 ; 4-byte Folded Spill
	buffer_store_dword v11, off, s[20:23], 0 offset:940 ; 4-byte Folded Spill
	buffer_store_dword v12, off, s[20:23], 0 offset:944 ; 4-byte Folded Spill
	ds_read_b128 v[0:3], v44 offset:23040
	s_waitcnt lgkmcnt(0)
	v_mul_f64 v[6:7], v[2:3], v[11:12]
	v_fma_f64 v[52:53], v[0:1], v[9:10], -v[6:7]
	v_mul_f64 v[0:1], v[0:1], v[11:12]
	v_fma_f64 v[58:59], v[2:3], v[9:10], v[0:1]
	;; [unrolled: 12-line block ×5, first 2 shown]
	v_mul_u32_u24_sdwa v0, v123, v8 dst_sel:DWORD dst_unused:UNUSED_PAD src0_sel:WORD_0 src1_sel:DWORD
	v_lshrrev_b32_e32 v128, 21, v0
	v_mul_lo_u16 v0, v128, 36
	v_sub_nc_u16 v129, v123, v0
	v_mul_lo_u16 v0, 0x50, v129
	v_and_b32_e32 v0, 0xffff, v0
	v_add_co_u32 v4, s12, s10, v0
	v_add_co_ci_u32_e64 v5, null, s11, 0, s12
	global_load_dwordx4 v[8:11], v[4:5], off offset:480
	s_waitcnt vmcnt(0)
	buffer_store_dword v8, off, s[20:23], 0 offset:996 ; 4-byte Folded Spill
	buffer_store_dword v9, off, s[20:23], 0 offset:1000 ; 4-byte Folded Spill
	buffer_store_dword v10, off, s[20:23], 0 offset:1004 ; 4-byte Folded Spill
	buffer_store_dword v11, off, s[20:23], 0 offset:1008 ; 4-byte Folded Spill
	ds_read_b128 v[0:3], v44 offset:16128
	s_waitcnt lgkmcnt(0)
	v_mul_f64 v[6:7], v[2:3], v[10:11]
	v_fma_f64 v[48:49], v[0:1], v[8:9], -v[6:7]
	v_mul_f64 v[0:1], v[0:1], v[10:11]
	v_fma_f64 v[62:63], v[2:3], v[8:9], v[0:1]
	global_load_dwordx4 v[8:11], v[4:5], off offset:496
	s_waitcnt vmcnt(0)
	buffer_store_dword v8, off, s[20:23], 0 offset:1012 ; 4-byte Folded Spill
	buffer_store_dword v9, off, s[20:23], 0 offset:1016 ; 4-byte Folded Spill
	buffer_store_dword v10, off, s[20:23], 0 offset:1020 ; 4-byte Folded Spill
	buffer_store_dword v11, off, s[20:23], 0 offset:1024 ; 4-byte Folded Spill
	ds_read_b128 v[0:3], v44 offset:25344
	s_waitcnt lgkmcnt(0)
	v_mul_f64 v[6:7], v[2:3], v[10:11]
	v_fma_f64 v[68:69], v[0:1], v[8:9], -v[6:7]
	v_mul_f64 v[0:1], v[0:1], v[10:11]
	v_fma_f64 v[76:77], v[2:3], v[8:9], v[0:1]
	global_load_dwordx4 v[8:11], v[4:5], off offset:512
	s_waitcnt vmcnt(0)
	buffer_store_dword v8, off, s[20:23], 0 offset:1028 ; 4-byte Folded Spill
	buffer_store_dword v9, off, s[20:23], 0 offset:1032 ; 4-byte Folded Spill
	buffer_store_dword v10, off, s[20:23], 0 offset:1036 ; 4-byte Folded Spill
	buffer_store_dword v11, off, s[20:23], 0 offset:1040 ; 4-byte Folded Spill
	ds_read_b128 v[0:3], v44 offset:34560
	s_waitcnt lgkmcnt(0)
	v_mul_f64 v[6:7], v[2:3], v[10:11]
	v_fma_f64 v[90:91], v[0:1], v[8:9], -v[6:7]
	v_mul_f64 v[0:1], v[0:1], v[10:11]
	v_fma_f64 v[84:85], v[2:3], v[8:9], v[0:1]
	global_load_dwordx4 v[8:11], v[4:5], off offset:528
	s_waitcnt vmcnt(0)
	buffer_store_dword v8, off, s[20:23], 0 offset:1044 ; 4-byte Folded Spill
	buffer_store_dword v9, off, s[20:23], 0 offset:1048 ; 4-byte Folded Spill
	buffer_store_dword v10, off, s[20:23], 0 offset:1052 ; 4-byte Folded Spill
	buffer_store_dword v11, off, s[20:23], 0 offset:1056 ; 4-byte Folded Spill
	ds_read_b128 v[0:3], v44 offset:43776
	s_waitcnt lgkmcnt(0)
	v_mul_f64 v[6:7], v[2:3], v[10:11]
	v_fma_f64 v[92:93], v[0:1], v[8:9], -v[6:7]
	v_mul_f64 v[0:1], v[0:1], v[10:11]
	v_fma_f64 v[96:97], v[2:3], v[8:9], v[0:1]
	global_load_dwordx4 v[6:9], v[4:5], off offset:544
	s_waitcnt vmcnt(0)
	buffer_store_dword v6, off, s[20:23], 0 offset:1060 ; 4-byte Folded Spill
	buffer_store_dword v7, off, s[20:23], 0 offset:1064 ; 4-byte Folded Spill
	;; [unrolled: 1-line block ×4, first 2 shown]
	ds_read_b128 v[0:3], v44 offset:52992
	v_add_f64 v[136:137], v[76:77], v[96:97]
	s_waitcnt lgkmcnt(0)
	v_mul_f64 v[4:5], v[2:3], v[8:9]
	v_fma_f64 v[102:103], v[0:1], v[6:7], -v[4:5]
	v_mul_f64 v[0:1], v[0:1], v[8:9]
	v_add_f64 v[4:5], v[28:29], v[50:51]
	v_fma_f64 v[100:101], v[2:3], v[6:7], v[0:1]
	ds_read_b128 v[0:3], v44
	v_add_f64 v[6:7], v[26:27], v[34:35]
	s_waitcnt lgkmcnt(0)
	v_fma_f64 v[112:113], v[4:5], -0.5, v[0:1]
	v_add_f64 v[4:5], v[30:31], v[56:57]
	v_add_f64 v[0:1], v[0:1], v[28:29]
	;; [unrolled: 1-line block ×3, first 2 shown]
	v_add_f64 v[28:29], v[28:29], -v[50:51]
	v_fma_f64 v[114:115], v[4:5], -0.5, v[2:3]
	v_add_f64 v[4:5], v[24:25], v[36:37]
	v_add_f64 v[2:3], v[2:3], v[30:31]
	;; [unrolled: 1-line block ×3, first 2 shown]
	v_add_f64 v[30:31], v[30:31], -v[56:57]
	v_add_f64 v[4:5], v[4:5], v[72:73]
	v_add_f64 v[2:3], v[2:3], v[56:57]
	v_fma_f64 v[56:57], v[28:29], s[8:9], v[114:115]
	v_fma_f64 v[50:51], v[30:31], s[6:7], v[112:113]
	;; [unrolled: 1-line block ×3, first 2 shown]
	v_add_f64 v[20:21], v[0:1], v[4:5]
	v_add_f64 v[16:17], v[0:1], -v[4:5]
	v_add_f64 v[4:5], v[42:43], v[66:67]
	v_add_f64 v[22:23], v[2:3], v[6:7]
	v_add_f64 v[18:19], v[2:3], -v[6:7]
	ds_read_b128 v[0:3], v44 offset:2304
	v_add_f64 v[6:7], v[38:39], v[54:55]
	s_waitcnt lgkmcnt(0)
	v_fma_f64 v[108:109], v[4:5], -0.5, v[0:1]
	v_add_f64 v[4:5], v[118:119], v[74:75]
	v_add_f64 v[0:1], v[0:1], v[42:43]
	;; [unrolled: 1-line block ×3, first 2 shown]
	v_add_f64 v[42:43], v[42:43], -v[66:67]
	v_fma_f64 v[110:111], v[4:5], -0.5, v[2:3]
	v_add_f64 v[4:5], v[32:33], v[60:61]
	v_add_f64 v[2:3], v[2:3], v[118:119]
	;; [unrolled: 1-line block ×6, first 2 shown]
	v_add_f64 v[8:9], v[0:1], -v[4:5]
	v_add_f64 v[4:5], v[52:53], v[80:81]
	v_add_f64 v[14:15], v[2:3], v[6:7]
	v_add_f64 v[10:11], v[2:3], -v[6:7]
	ds_read_b128 v[0:3], v44 offset:4608
	s_waitcnt lgkmcnt(0)
	v_fma_f64 v[104:105], v[4:5], -0.5, v[0:1]
	v_add_f64 v[4:5], v[58:59], v[86:87]
	v_add_f64 v[0:1], v[0:1], v[52:53]
	v_fma_f64 v[106:107], v[4:5], -0.5, v[2:3]
	v_add_f64 v[4:5], v[40:41], v[78:79]
	v_add_f64 v[2:3], v[2:3], v[58:59]
	;; [unrolled: 1-line block ×3, first 2 shown]
	v_add_f64 v[58:59], v[58:59], -v[86:87]
	v_add_f64 v[116:117], v[4:5], v[98:99]
	v_add_f64 v[4:5], v[46:47], v[70:71]
	;; [unrolled: 1-line block ×5, first 2 shown]
	v_add_f64 v[0:1], v[0:1], -v[116:117]
	v_add_f64 v[116:117], v[68:69], v[92:93]
	v_add_f64 v[6:7], v[2:3], v[132:133]
	v_add_f64 v[2:3], v[2:3], -v[132:133]
	ds_read_b128 v[132:135], v44 offset:6912
	s_waitcnt lgkmcnt(0)
	s_waitcnt_vscnt null, 0x0
	s_barrier
	buffer_gl0_inv
	ds_write_b128 v130, v[20:23]
	ds_write_b128 v130, v[16:19] offset:1728
	v_add_f64 v[16:17], v[36:37], v[72:73]
	v_add_f64 v[18:19], v[34:35], v[64:65]
	v_add_f64 v[34:35], v[34:35], -v[64:65]
	v_add_f64 v[36:37], v[36:37], -v[72:73]
	v_fma_f64 v[72:73], v[42:43], s[8:9], v[110:111]
	v_fma_f64 v[42:43], v[42:43], s[6:7], v[110:111]
	buffer_store_dword v130, off, s[20:23], 0 offset:1100 ; 4-byte Folded Spill
	v_fma_f64 v[116:117], v[116:117], -0.5, v[132:133]
	v_add_f64 v[132:133], v[132:133], v[68:69]
	v_fma_f64 v[140:141], v[136:137], -0.5, v[134:135]
	v_add_f64 v[134:135], v[134:135], v[76:77]
	v_add_f64 v[68:69], v[68:69], -v[92:93]
	v_fma_f64 v[24:25], v[16:17], -0.5, v[24:25]
	v_fma_f64 v[26:27], v[18:19], -0.5, v[26:27]
	v_add_f64 v[136:137], v[132:133], v[92:93]
	v_add_f64 v[132:133], v[48:49], v[90:91]
	;; [unrolled: 1-line block ×3, first 2 shown]
	v_fma_f64 v[18:19], v[34:35], s[6:7], v[24:25]
	v_fma_f64 v[24:25], v[34:35], s[8:9], v[24:25]
	v_fma_f64 v[16:17], v[36:37], s[8:9], v[26:27]
	v_fma_f64 v[34:35], v[28:29], s[6:7], v[114:115]
	v_fma_f64 v[26:27], v[36:37], s[6:7], v[26:27]
	v_add_f64 v[142:143], v[132:133], v[102:103]
	v_add_f64 v[132:133], v[62:63], v[84:85]
	v_mul_f64 v[28:29], v[24:25], -0.5
	v_mul_f64 v[20:21], v[16:17], s[6:7]
	v_add_f64 v[144:145], v[132:133], v[100:101]
	v_add_f64 v[132:133], v[136:137], v[142:143]
	v_add_f64 v[136:137], v[136:137], -v[142:143]
	v_fma_f64 v[28:29], v[26:27], s[6:7], v[28:29]
	v_mul_f64 v[26:27], v[26:27], -0.5
	v_fma_f64 v[20:21], v[18:19], 0.5, v[20:21]
	v_mul_f64 v[18:19], v[18:19], s[8:9]
	v_add_f64 v[134:135], v[138:139], v[144:145]
	v_add_f64 v[138:139], v[138:139], -v[144:145]
	v_fma_f64 v[36:37], v[24:25], s[8:9], v[26:27]
	v_add_f64 v[24:25], v[30:31], v[28:29]
	v_add_f64 v[28:29], v[30:31], -v[28:29]
	v_fma_f64 v[22:23], v[16:17], 0.5, v[18:19]
	v_add_f64 v[16:17], v[50:51], v[20:21]
	v_add_f64 v[20:21], v[50:51], -v[20:21]
	v_add_f64 v[50:51], v[60:61], -v[88:89]
	v_add_f64 v[26:27], v[34:35], v[36:37]
	v_add_f64 v[30:31], v[34:35], -v[36:37]
	v_add_f64 v[34:35], v[60:61], v[88:89]
	v_add_f64 v[36:37], v[54:55], v[82:83]
	v_add_f64 v[54:55], v[54:55], -v[82:83]
	v_add_f64 v[18:19], v[56:57], v[22:23]
	v_add_f64 v[22:23], v[56:57], -v[22:23]
	v_add_f64 v[60:61], v[118:119], -v[74:75]
	;; [unrolled: 1-line block ×3, first 2 shown]
	v_fma_f64 v[88:89], v[68:69], s[8:9], v[140:141]
	v_fma_f64 v[68:69], v[68:69], s[6:7], v[140:141]
	ds_write_b128 v130, v[16:19] offset:576
	ds_write_b128 v130, v[24:27] offset:1152
	ds_write_b128 v130, v[20:23] offset:2304
	ds_write_b128 v130, v[28:31] offset:2880
	v_fma_f64 v[64:65], v[34:35], -0.5, v[32:33]
	v_fma_f64 v[56:57], v[36:37], -0.5, v[38:39]
	v_fma_f64 v[66:67], v[60:61], s[6:7], v[108:109]
	v_fma_f64 v[60:61], v[60:61], s[8:9], v[108:109]
	v_mad_u16 v16, 0xd8, v124, v125
	v_fma_f64 v[34:35], v[54:55], s[6:7], v[64:65]
	v_fma_f64 v[54:55], v[54:55], s[8:9], v[64:65]
	;; [unrolled: 1-line block ×4, first 2 shown]
	v_mul_f64 v[56:57], v[54:55], -0.5
	v_mul_f64 v[36:37], v[32:33], s[6:7]
	v_fma_f64 v[64:65], v[50:51], s[6:7], v[56:57]
	v_mul_f64 v[50:51], v[50:51], -0.5
	v_fma_f64 v[36:37], v[34:35], 0.5, v[36:37]
	v_mul_f64 v[34:35], v[34:35], s[8:9]
	v_fma_f64 v[50:51], v[54:55], s[8:9], v[50:51]
	v_add_f64 v[54:55], v[60:61], v[64:65]
	v_fma_f64 v[38:39], v[32:33], 0.5, v[34:35]
	v_add_f64 v[32:33], v[66:67], v[36:37]
	v_add_f64 v[36:37], v[66:67], -v[36:37]
	v_add_f64 v[64:65], v[60:61], -v[64:65]
	;; [unrolled: 1-line block ×3, first 2 shown]
	v_add_f64 v[56:57], v[42:43], v[50:51]
	v_add_f64 v[66:67], v[42:43], -v[50:51]
	v_add_f64 v[50:51], v[70:71], v[94:95]
	v_add_f64 v[42:43], v[78:79], v[98:99]
	v_add_f64 v[70:71], v[70:71], -v[94:95]
	v_fma_f64 v[78:79], v[58:59], s[6:7], v[104:105]
	v_add_f64 v[34:35], v[72:73], v[38:39]
	v_add_f64 v[38:39], v[72:73], -v[38:39]
	v_add_f64 v[72:73], v[52:53], -v[80:81]
	v_fma_f64 v[45:46], v[50:51], -0.5, v[46:47]
	v_fma_f64 v[74:75], v[42:43], -0.5, v[40:41]
	v_fma_f64 v[80:81], v[72:73], s[8:9], v[106:107]
	v_fma_f64 v[72:73], v[72:73], s[6:7], v[106:107]
	;; [unrolled: 1-line block ×7, first 2 shown]
	v_mul_f64 v[50:51], v[40:41], s[6:7]
	v_mul_f64 v[58:59], v[70:71], -0.5
	v_fma_f64 v[50:51], v[42:43], 0.5, v[50:51]
	v_mul_f64 v[42:43], v[42:43], s[8:9]
	v_fma_f64 v[52:53], v[40:41], 0.5, v[42:43]
	v_add_f64 v[40:41], v[78:79], v[50:51]
	v_add_f64 v[50:51], v[78:79], -v[50:51]
	v_fma_f64 v[78:79], v[45:46], s[6:7], v[58:59]
	v_mul_f64 v[45:46], v[45:46], -0.5
	v_add_f64 v[42:43], v[80:81], v[52:53]
	v_add_f64 v[52:53], v[80:81], -v[52:53]
	v_add_f64 v[80:81], v[76:77], -v[96:97]
	v_add_f64 v[58:59], v[74:75], v[78:79]
	v_fma_f64 v[45:46], v[70:71], s[8:9], v[45:46]
	v_add_f64 v[70:71], v[74:75], -v[78:79]
	v_add_f64 v[74:75], v[84:85], v[100:101]
	v_add_f64 v[78:79], v[90:91], -v[102:103]
	v_fma_f64 v[86:87], v[80:81], s[6:7], v[116:117]
	v_add_f64 v[60:61], v[72:73], v[45:46]
	v_add_f64 v[72:73], v[72:73], -v[45:46]
	v_add_f64 v[45:46], v[90:91], v[102:103]
	v_fma_f64 v[62:63], v[74:75], -0.5, v[62:63]
	v_fma_f64 v[84:85], v[45:46], -0.5, v[48:49]
	v_fma_f64 v[45:46], v[78:79], s[8:9], v[62:63]
	v_fma_f64 v[62:63], v[78:79], s[6:7], v[62:63]
	;; [unrolled: 1-line block ×3, first 2 shown]
	v_mul_f64 v[74:75], v[45:46], s[6:7]
	v_fma_f64 v[82:83], v[82:83], s[8:9], v[84:85]
	v_fma_f64 v[84:85], v[80:81], s[8:9], v[116:117]
	v_fma_f64 v[74:75], v[47:48], 0.5, v[74:75]
	v_mul_f64 v[47:48], v[47:48], s[8:9]
	v_mul_f64 v[78:79], v[82:83], -0.5
	v_fma_f64 v[76:77], v[45:46], 0.5, v[47:48]
	v_add_f64 v[46:47], v[86:87], v[74:75]
	v_add_f64 v[74:75], v[86:87], -v[74:75]
	v_fma_f64 v[86:87], v[62:63], s[6:7], v[78:79]
	v_mul_f64 v[62:63], v[62:63], -0.5
	v_lshlrev_b32_sdwa v45, v122, v16 dst_sel:DWORD dst_unused:UNUSED_PAD src0_sel:DWORD src1_sel:WORD_0
	ds_write_b128 v45, v[12:15]
	ds_write_b128 v45, v[32:35] offset:576
	ds_write_b128 v45, v[54:57] offset:1152
	;; [unrolled: 1-line block ×5, first 2 shown]
	v_mad_u16 v8, 0xd8, v126, v127
	v_mad_u64_u32 v[12:13], null, v147, 48, s[10:11]
	v_mov_b32_e32 v34, 0x12f7
	v_lshlrev_b32_sdwa v8, v122, v8 dst_sel:DWORD dst_unused:UNUSED_PAD src0_sel:DWORD src1_sel:WORD_0
	buffer_store_dword v8, off, s[20:23], 0 offset:1096 ; 4-byte Folded Spill
	v_add_f64 v[48:49], v[88:89], v[76:77]
	v_add_f64 v[76:77], v[88:89], -v[76:77]
	ds_write_b128 v8, v[4:7]
	ds_write_b128 v8, v[40:43] offset:576
	ds_write_b128 v8, v[58:61] offset:1152
	;; [unrolled: 1-line block ×5, first 2 shown]
	v_add_f64 v[78:79], v[84:85], v[86:87]
	v_fma_f64 v[62:63], v[82:83], s[8:9], v[62:63]
	v_add_f64 v[82:83], v[84:85], -v[86:87]
	v_mad_u16 v0, 0xd8, v128, v129
	v_lshlrev_b32_sdwa v0, v122, v0 dst_sel:DWORD dst_unused:UNUSED_PAD src0_sel:DWORD src1_sel:WORD_0
	buffer_store_dword v0, off, s[20:23], 0 offset:1092 ; 4-byte Folded Spill
	v_add_f64 v[80:81], v[68:69], v[62:63]
	v_add_f64 v[84:85], v[68:69], -v[62:63]
	ds_write_b128 v0, v[132:135]
	ds_write_b128 v0, v[46:49] offset:576
	ds_write_b128 v0, v[78:81] offset:1152
	;; [unrolled: 1-line block ×5, first 2 shown]
	v_add_co_u32 v0, vcc_lo, 0x800, v12
	v_add_co_ci_u32_e32 v1, vcc_lo, 0, v13, vcc_lo
	buffer_store_dword v147, off, s[20:23], 0 offset:396 ; 4-byte Folded Spill
	s_waitcnt lgkmcnt(0)
	s_waitcnt_vscnt null, 0x0
	s_barrier
	buffer_gl0_inv
	global_load_dwordx4 v[6:9], v[0:1], off offset:1312
	s_waitcnt vmcnt(0)
	buffer_store_dword v6, off, s[20:23], 0 offset:1076 ; 4-byte Folded Spill
	buffer_store_dword v7, off, s[20:23], 0 offset:1080 ; 4-byte Folded Spill
	;; [unrolled: 1-line block ×4, first 2 shown]
	ds_read_b128 v[0:3], v44 offset:13824
	s_waitcnt lgkmcnt(0)
	v_mul_f64 v[4:5], v[2:3], v[8:9]
	v_fma_f64 v[14:15], v[0:1], v[6:7], -v[4:5]
	v_mul_f64 v[0:1], v[0:1], v[8:9]
	v_fma_f64 v[16:17], v[2:3], v[6:7], v[0:1]
	v_add_co_u32 v6, vcc_lo, 0xd20, v12
	v_add_co_ci_u32_e32 v7, vcc_lo, 0, v13, vcc_lo
	ds_read_b128 v[2:5], v44 offset:27648
	v_cmp_gt_u16_e32 vcc_lo, 0x48, v120
	s_clause 0x1
	global_load_dwordx4 v[252:255], v[6:7], off offset:16
	global_load_dwordx4 v[248:251], v[6:7], off offset:32
	ds_read_b128 v[6:9], v44 offset:41472
	s_waitcnt vmcnt(1) lgkmcnt(1)
	v_mul_f64 v[0:1], v[4:5], v[254:255]
	v_fma_f64 v[0:1], v[2:3], v[252:253], -v[0:1]
	v_mul_f64 v[2:3], v[2:3], v[254:255]
	v_fma_f64 v[2:3], v[4:5], v[252:253], v[2:3]
	s_waitcnt vmcnt(0) lgkmcnt(0)
	v_mul_f64 v[4:5], v[8:9], v[250:251]
	v_fma_f64 v[4:5], v[6:7], v[248:249], -v[4:5]
	v_mul_f64 v[6:7], v[6:7], v[250:251]
	v_add_f64 v[84:85], v[14:15], -v[4:5]
	v_fma_f64 v[6:7], v[8:9], v[248:249], v[6:7]
	v_add_nc_u32_e32 v8, 0xffffffb8, v147
	v_cndmask_b32_e32 v88, v8, v121, vcc_lo
	v_mul_i32_i24_e32 v8, 48, v88
	v_add_co_u32 v22, vcc_lo, s10, v8
	v_mul_hi_i32_i24_e32 v8, 48, v88
	v_add_f64 v[82:83], v[16:17], -v[6:7]
	v_add_co_ci_u32_e32 v23, vcc_lo, s11, v8, vcc_lo
	v_add_co_u32 v8, vcc_lo, 0x800, v22
	v_add_co_ci_u32_e32 v9, vcc_lo, 0, v23, vcc_lo
	v_add_co_u32 v22, vcc_lo, 0xd20, v22
	v_add_co_ci_u32_e32 v23, vcc_lo, 0, v23, vcc_lo
	global_load_dwordx4 v[244:247], v[8:9], off offset:1312
	ds_read_b128 v[8:11], v44 offset:16128
	s_clause 0x1
	global_load_dwordx4 v[140:143], v[22:23], off offset:16
	global_load_dwordx4 v[240:243], v[22:23], off offset:32
	s_waitcnt vmcnt(2) lgkmcnt(0)
	v_mul_f64 v[18:19], v[10:11], v[246:247]
	v_fma_f64 v[18:19], v[8:9], v[244:245], -v[18:19]
	v_mul_f64 v[8:9], v[8:9], v[246:247]
	v_fma_f64 v[20:21], v[10:11], v[244:245], v[8:9]
	ds_read_b128 v[8:11], v44 offset:29952
	s_waitcnt vmcnt(1) lgkmcnt(0)
	v_mul_f64 v[24:25], v[10:11], v[142:143]
	v_fma_f64 v[70:71], v[8:9], v[140:141], -v[24:25]
	v_mul_f64 v[8:9], v[8:9], v[142:143]
	v_fma_f64 v[72:73], v[10:11], v[140:141], v[8:9]
	ds_read_b128 v[8:11], v44 offset:43776
	s_waitcnt vmcnt(0) lgkmcnt(0)
	v_mul_f64 v[22:23], v[10:11], v[242:243]
	v_fma_f64 v[74:75], v[8:9], v[240:241], -v[22:23]
	v_mul_f64 v[8:9], v[8:9], v[242:243]
	v_fma_f64 v[76:77], v[10:11], v[240:241], v[8:9]
	v_add_co_u32 v8, vcc_lo, 0x1800, v12
	v_add_co_ci_u32_e32 v9, vcc_lo, 0, v13, vcc_lo
	global_load_dwordx4 v[236:239], v[8:9], off offset:672
	ds_read_b128 v[8:11], v44 offset:18432
	s_waitcnt vmcnt(0) lgkmcnt(0)
	v_mul_f64 v[22:23], v[10:11], v[238:239]
	v_fma_f64 v[36:37], v[8:9], v[236:237], -v[22:23]
	v_add_co_u32 v22, vcc_lo, 0x1aa0, v12
	v_add_co_ci_u32_e32 v23, vcc_lo, 0, v13, vcc_lo
	v_mul_f64 v[8:9], v[8:9], v[238:239]
	s_clause 0x1
	global_load_dwordx4 v[232:235], v[22:23], off offset:16
	global_load_dwordx4 v[228:231], v[22:23], off offset:32
	v_fma_f64 v[40:41], v[10:11], v[236:237], v[8:9]
	ds_read_b128 v[8:11], v44 offset:32256
	s_waitcnt vmcnt(1) lgkmcnt(0)
	v_mul_f64 v[24:25], v[10:11], v[234:235]
	v_fma_f64 v[62:63], v[8:9], v[232:233], -v[24:25]
	v_mul_f64 v[8:9], v[8:9], v[234:235]
	v_fma_f64 v[64:65], v[10:11], v[232:233], v[8:9]
	ds_read_b128 v[8:11], v44 offset:46080
	s_waitcnt vmcnt(0) lgkmcnt(0)
	v_mul_f64 v[22:23], v[10:11], v[230:231]
	v_fma_f64 v[66:67], v[8:9], v[228:229], -v[22:23]
	v_mul_f64 v[8:9], v[8:9], v[230:231]
	v_fma_f64 v[68:69], v[10:11], v[228:229], v[8:9]
	v_lshrrev_b16 v8, 3, v123
	v_mul_u32_u24_sdwa v8, v8, v34 dst_sel:DWORD dst_unused:UNUSED_PAD src0_sel:WORD_0 src1_sel:DWORD
	v_lshrrev_b32_e32 v8, 17, v8
	v_mul_lo_u16 v8, 0xd8, v8
	v_sub_nc_u16 v92, v123, v8
	v_mul_lo_u16 v8, v92, 48
	v_and_b32_e32 v8, 0xffff, v8
	v_add_co_u32 v24, s12, s10, v8
	v_add_co_ci_u32_e64 v25, null, s11, 0, s12
	v_add_co_u32 v8, vcc_lo, 0x800, v24
	v_add_co_ci_u32_e32 v9, vcc_lo, 0, v25, vcc_lo
	global_load_dwordx4 v[224:227], v[8:9], off offset:1312
	ds_read_b128 v[8:11], v44 offset:20736
	s_waitcnt vmcnt(0) lgkmcnt(0)
	v_mul_f64 v[22:23], v[10:11], v[226:227]
	v_fma_f64 v[30:31], v[8:9], v[224:225], -v[22:23]
	v_add_co_u32 v22, vcc_lo, 0xd20, v24
	v_add_co_ci_u32_e32 v23, vcc_lo, 0, v25, vcc_lo
	v_mul_f64 v[8:9], v[8:9], v[226:227]
	s_clause 0x1
	global_load_dwordx4 v[220:223], v[22:23], off offset:16
	global_load_dwordx4 v[216:219], v[22:23], off offset:32
	v_fma_f64 v[32:33], v[10:11], v[224:225], v[8:9]
	ds_read_b128 v[8:11], v44 offset:34560
	s_waitcnt vmcnt(1) lgkmcnt(0)
	v_mul_f64 v[24:25], v[10:11], v[222:223]
	v_fma_f64 v[54:55], v[8:9], v[220:221], -v[24:25]
	v_mul_f64 v[8:9], v[8:9], v[222:223]
	v_fma_f64 v[56:57], v[10:11], v[220:221], v[8:9]
	ds_read_b128 v[8:11], v44 offset:48384
	s_waitcnt vmcnt(0) lgkmcnt(0)
	v_mul_f64 v[22:23], v[10:11], v[218:219]
	v_fma_f64 v[58:59], v[8:9], v[216:217], -v[22:23]
	v_mul_f64 v[8:9], v[8:9], v[218:219]
	v_fma_f64 v[60:61], v[10:11], v[216:217], v[8:9]
	v_add_nc_u16 v8, v120, 0x240
	v_lshrrev_b16 v9, 3, v8
	v_mul_u32_u24_sdwa v9, v9, v34 dst_sel:DWORD dst_unused:UNUSED_PAD src0_sel:WORD_0 src1_sel:DWORD
	v_lshrrev_b32_e32 v90, 17, v9
	v_mul_lo_u16 v9, 0xd8, v90
	v_sub_nc_u16 v91, v8, v9
	v_mul_lo_u16 v8, v91, 48
	v_and_b32_e32 v8, 0xffff, v8
	v_add_co_u32 v24, s12, s10, v8
	v_add_co_ci_u32_e64 v25, null, s11, 0, s12
	v_add_co_u32 v8, vcc_lo, 0x800, v24
	v_add_co_ci_u32_e32 v9, vcc_lo, 0, v25, vcc_lo
	global_load_dwordx4 v[212:215], v[8:9], off offset:1312
	ds_read_b128 v[8:11], v44 offset:23040
	s_waitcnt vmcnt(0) lgkmcnt(0)
	v_mul_f64 v[22:23], v[10:11], v[214:215]
	v_fma_f64 v[26:27], v[8:9], v[212:213], -v[22:23]
	v_add_co_u32 v22, vcc_lo, 0xd20, v24
	v_add_co_ci_u32_e32 v23, vcc_lo, 0, v25, vcc_lo
	v_mul_f64 v[8:9], v[8:9], v[214:215]
	s_clause 0x1
	global_load_dwordx4 v[208:211], v[22:23], off offset:16
	global_load_dwordx4 v[204:207], v[22:23], off offset:32
	v_fma_f64 v[28:29], v[10:11], v[212:213], v[8:9]
	ds_read_b128 v[8:11], v44 offset:36864
	s_waitcnt vmcnt(1) lgkmcnt(0)
	v_mul_f64 v[24:25], v[10:11], v[210:211]
	v_fma_f64 v[46:47], v[8:9], v[208:209], -v[24:25]
	v_mul_f64 v[8:9], v[8:9], v[210:211]
	v_fma_f64 v[48:49], v[10:11], v[208:209], v[8:9]
	ds_read_b128 v[8:11], v44 offset:50688
	s_waitcnt vmcnt(0) lgkmcnt(0)
	v_mul_f64 v[22:23], v[10:11], v[206:207]
	v_fma_f64 v[50:51], v[8:9], v[204:205], -v[22:23]
	v_mul_f64 v[8:9], v[8:9], v[206:207]
	v_fma_f64 v[52:53], v[10:11], v[204:205], v[8:9]
	v_add_nc_u16 v8, v120, 0x2d0
	v_lshrrev_b16 v9, 3, v8
	v_mul_u32_u24_sdwa v9, v9, v34 dst_sel:DWORD dst_unused:UNUSED_PAD src0_sel:WORD_0 src1_sel:DWORD
	v_lshrrev_b32_e32 v9, 17, v9
	v_mul_lo_u16 v9, 0xd8, v9
	v_sub_nc_u16 v89, v8, v9
	v_mul_lo_u16 v8, v89, 48
	v_and_b32_e32 v8, 0xffff, v8
	v_add_co_u32 v34, s12, s10, v8
	v_add_co_ci_u32_e64 v35, null, s11, 0, s12
	v_add_co_u32 v8, vcc_lo, 0x800, v34
	v_add_co_ci_u32_e32 v9, vcc_lo, 0, v35, vcc_lo
	v_add_co_u32 v42, vcc_lo, 0xd20, v34
	v_add_co_ci_u32_e32 v43, vcc_lo, 0, v35, vcc_lo
	global_load_dwordx4 v[200:203], v[8:9], off offset:1312
	ds_read_b128 v[8:11], v44 offset:25344
	v_cmp_lt_u16_e32 vcc_lo, 0x47, v120
	s_clause 0x1
	global_load_dwordx4 v[196:199], v[42:43], off offset:16
	global_load_dwordx4 v[192:195], v[42:43], off offset:32
	s_waitcnt vmcnt(2) lgkmcnt(0)
	v_mul_f64 v[22:23], v[10:11], v[202:203]
	v_fma_f64 v[22:23], v[8:9], v[200:201], -v[22:23]
	v_mul_f64 v[8:9], v[8:9], v[202:203]
	v_fma_f64 v[24:25], v[10:11], v[200:201], v[8:9]
	ds_read_b128 v[8:11], v44 offset:39168
	s_waitcnt vmcnt(1) lgkmcnt(0)
	v_mul_f64 v[34:35], v[10:11], v[198:199]
	v_fma_f64 v[34:35], v[8:9], v[196:197], -v[34:35]
	v_mul_f64 v[8:9], v[8:9], v[198:199]
	v_fma_f64 v[38:39], v[10:11], v[196:197], v[8:9]
	ds_read_b128 v[8:11], v44 offset:52992
	s_waitcnt vmcnt(0) lgkmcnt(0)
	v_mul_f64 v[42:43], v[10:11], v[194:195]
	v_fma_f64 v[42:43], v[8:9], v[192:193], -v[42:43]
	v_mul_f64 v[8:9], v[8:9], v[194:195]
	v_fma_f64 v[86:87], v[10:11], v[192:193], v[8:9]
	ds_read_b128 v[8:11], v44
	s_waitcnt lgkmcnt(0)
	v_add_f64 v[93:94], v[8:9], -v[0:1]
	v_add_f64 v[95:96], v[10:11], -v[2:3]
	;; [unrolled: 1-line block ×3, first 2 shown]
	v_add_f64 v[2:3], v[95:96], v[84:85]
	v_fma_f64 v[78:79], v[8:9], 2.0, -v[93:94]
	v_fma_f64 v[80:81], v[10:11], 2.0, -v[95:96]
	;; [unrolled: 1-line block ×4, first 2 shown]
	ds_read_b128 v[8:11], v44 offset:11520
	ds_read_b128 v[93:96], v44 offset:2304
	;; [unrolled: 1-line block ×5, first 2 shown]
	s_waitcnt lgkmcnt(0)
	s_waitcnt_vscnt null, 0x0
	s_barrier
	buffer_gl0_inv
	ds_write_b128 v44, v[0:3] offset:10368
	ds_write_b128 v44, v[4:7] offset:3456
	v_fma_f64 v[0:1], v[14:15], 2.0, -v[84:85]
	v_fma_f64 v[2:3], v[16:17], 2.0, -v[82:83]
	v_add_f64 v[14:15], v[93:94], -v[70:71]
	v_add_f64 v[16:17], v[95:96], -v[72:73]
	;; [unrolled: 1-line block ×6, first 2 shown]
	v_fma_f64 v[4:5], v[78:79], 2.0, -v[0:1]
	v_fma_f64 v[6:7], v[80:81], 2.0, -v[2:3]
	ds_write_b128 v44, v[0:3] offset:6912
	ds_write_b128 v44, v[4:7]
	v_fma_f64 v[4:5], v[93:94], 2.0, -v[14:15]
	v_fma_f64 v[6:7], v[95:96], 2.0, -v[16:17]
	v_fma_f64 v[0:1], v[18:19], 2.0, -v[70:71]
	v_fma_f64 v[2:3], v[20:21], 2.0, -v[72:73]
	v_cndmask_b32_e64 v18, 0, 0x360, vcc_lo
	v_add_f64 v[20:21], v[40:41], -v[68:69]
	v_add_lshl_u32 v18, v88, v18, 4
	buffer_store_dword v18, off, s[20:23], 0 offset:1104 ; 4-byte Folded Spill
	v_add_f64 v[0:1], v[4:5], -v[0:1]
	v_add_f64 v[2:3], v[6:7], -v[2:3]
	v_fma_f64 v[4:5], v[4:5], 2.0, -v[0:1]
	v_fma_f64 v[6:7], v[6:7], 2.0, -v[2:3]
	ds_write_b128 v18, v[4:7]
	v_add_f64 v[4:5], v[14:15], -v[72:73]
	v_add_f64 v[6:7], v[16:17], v[70:71]
	v_fma_f64 v[14:15], v[14:15], 2.0, -v[4:5]
	v_fma_f64 v[16:17], v[16:17], 2.0, -v[6:7]
	ds_write_b128 v18, v[14:17] offset:3456
	ds_write_b128 v18, v[0:3] offset:6912
	;; [unrolled: 1-line block ×3, first 2 shown]
	v_add_f64 v[14:15], v[97:98], -v[62:63]
	v_add_f64 v[16:17], v[99:100], -v[64:65]
	;; [unrolled: 1-line block ×3, first 2 shown]
	v_fma_f64 v[2:3], v[40:41], 2.0, -v[20:21]
	v_fma_f64 v[4:5], v[97:98], 2.0, -v[14:15]
	;; [unrolled: 1-line block ×4, first 2 shown]
	v_add_f64 v[2:3], v[6:7], -v[2:3]
	v_add_f64 v[0:1], v[4:5], -v[0:1]
	v_fma_f64 v[6:7], v[6:7], 2.0, -v[2:3]
	v_fma_f64 v[4:5], v[4:5], 2.0, -v[0:1]
	ds_write_b128 v44, v[4:7] offset:14976
	v_add_f64 v[4:5], v[14:15], -v[20:21]
	v_add_f64 v[6:7], v[16:17], v[18:19]
	v_add_f64 v[18:19], v[30:31], -v[58:59]
	v_add_f64 v[20:21], v[32:33], -v[60:61]
	v_fma_f64 v[14:15], v[14:15], 2.0, -v[4:5]
	v_fma_f64 v[16:17], v[16:17], 2.0, -v[6:7]
	ds_write_b128 v44, v[14:17] offset:18432
	ds_write_b128 v44, v[0:3] offset:21888
	;; [unrolled: 1-line block ×3, first 2 shown]
	v_add_f64 v[14:15], v[101:102], -v[54:55]
	v_add_f64 v[16:17], v[103:104], -v[56:57]
	v_fma_f64 v[0:1], v[30:31], 2.0, -v[18:19]
	v_fma_f64 v[2:3], v[32:33], 2.0, -v[20:21]
	v_lshlrev_b32_sdwa v30, v122, v92 dst_sel:DWORD dst_unused:UNUSED_PAD src0_sel:DWORD src1_sel:WORD_0
	buffer_store_dword v30, off, s[20:23], 0 offset:1108 ; 4-byte Folded Spill
	v_fma_f64 v[4:5], v[101:102], 2.0, -v[14:15]
	v_fma_f64 v[6:7], v[103:104], 2.0, -v[16:17]
	v_add_f64 v[0:1], v[4:5], -v[0:1]
	v_add_f64 v[2:3], v[6:7], -v[2:3]
	v_fma_f64 v[4:5], v[4:5], 2.0, -v[0:1]
	v_fma_f64 v[6:7], v[6:7], 2.0, -v[2:3]
	ds_write_b128 v30, v[4:7] offset:27648
	v_add_f64 v[4:5], v[14:15], -v[20:21]
	v_add_f64 v[6:7], v[16:17], v[18:19]
	v_add_f64 v[18:19], v[26:27], -v[50:51]
	v_add_f64 v[20:21], v[28:29], -v[52:53]
	v_fma_f64 v[14:15], v[14:15], 2.0, -v[4:5]
	v_fma_f64 v[16:17], v[16:17], 2.0, -v[6:7]
	ds_write_b128 v30, v[14:17] offset:31104
	v_add_f64 v[14:15], v[105:106], -v[46:47]
	v_add_f64 v[16:17], v[107:108], -v[48:49]
	ds_write_b128 v30, v[0:3] offset:34560
	ds_write_b128 v30, v[4:7] offset:38016
	v_fma_f64 v[0:1], v[26:27], 2.0, -v[18:19]
	v_fma_f64 v[2:3], v[28:29], 2.0, -v[20:21]
	v_mad_u16 v26, 0x360, v90, v91
	v_lshlrev_b32_sdwa v26, v122, v26 dst_sel:DWORD dst_unused:UNUSED_PAD src0_sel:DWORD src1_sel:WORD_0
	buffer_store_dword v26, off, s[20:23], 0 offset:1112 ; 4-byte Folded Spill
	v_fma_f64 v[4:5], v[105:106], 2.0, -v[14:15]
	v_fma_f64 v[6:7], v[107:108], 2.0, -v[16:17]
	v_add_f64 v[0:1], v[4:5], -v[0:1]
	v_add_f64 v[2:3], v[6:7], -v[2:3]
	v_fma_f64 v[4:5], v[4:5], 2.0, -v[0:1]
	v_fma_f64 v[6:7], v[6:7], 2.0, -v[2:3]
	ds_write_b128 v26, v[4:7]
	v_add_f64 v[4:5], v[14:15], -v[20:21]
	v_add_f64 v[6:7], v[16:17], v[18:19]
	v_lshlrev_b32_sdwa v18, v122, v89 dst_sel:DWORD dst_unused:UNUSED_PAD src0_sel:DWORD src1_sel:WORD_0
	v_fma_f64 v[14:15], v[14:15], 2.0, -v[4:5]
	v_fma_f64 v[16:17], v[16:17], 2.0, -v[6:7]
	ds_write_b128 v26, v[14:17] offset:3456
	v_add_f64 v[14:15], v[8:9], -v[34:35]
	v_add_f64 v[16:17], v[10:11], -v[38:39]
	ds_write_b128 v26, v[0:3] offset:6912
	ds_write_b128 v26, v[4:7] offset:10368
	buffer_store_dword v18, off, s[20:23], 0 offset:1116 ; 4-byte Folded Spill
	v_fma_f64 v[4:5], v[8:9], 2.0, -v[14:15]
	v_fma_f64 v[6:7], v[10:11], 2.0, -v[16:17]
	v_add_f64 v[8:9], v[22:23], -v[42:43]
	v_add_f64 v[10:11], v[24:25], -v[86:87]
	v_fma_f64 v[0:1], v[22:23], 2.0, -v[8:9]
	v_fma_f64 v[2:3], v[24:25], 2.0, -v[10:11]
	v_add_f64 v[0:1], v[4:5], -v[0:1]
	v_add_f64 v[2:3], v[6:7], -v[2:3]
	v_fma_f64 v[4:5], v[4:5], 2.0, -v[0:1]
	v_fma_f64 v[6:7], v[6:7], 2.0, -v[2:3]
	ds_write_b128 v18, v[4:7] offset:41472
	v_add_f64 v[4:5], v[14:15], -v[10:11]
	v_add_f64 v[6:7], v[16:17], v[8:9]
	v_fma_f64 v[8:9], v[14:15], 2.0, -v[4:5]
	v_fma_f64 v[10:11], v[16:17], 2.0, -v[6:7]
	ds_write_b128 v18, v[8:11] offset:44928
	ds_write_b128 v18, v[0:3] offset:48384
	;; [unrolled: 1-line block ×3, first 2 shown]
	v_add_co_u32 v0, vcc_lo, 0x3000, v12
	v_add_co_ci_u32_e32 v1, vcc_lo, 0, v13, vcc_lo
	s_waitcnt lgkmcnt(0)
	s_waitcnt_vscnt null, 0x0
	s_barrier
	buffer_gl0_inv
	global_load_dwordx4 v[188:191], v[0:1], off offset:1440
	ds_read_b128 v[0:3], v44 offset:13824
	s_waitcnt vmcnt(0) lgkmcnt(0)
	v_mul_f64 v[4:5], v[2:3], v[190:191]
	v_fma_f64 v[138:139], v[0:1], v[188:189], -v[4:5]
	v_add_co_u32 v4, vcc_lo, 0x35a0, v12
	v_add_co_ci_u32_e32 v5, vcc_lo, 0, v13, vcc_lo
	v_mul_f64 v[0:1], v[0:1], v[190:191]
	v_mad_u64_u32 v[12:13], null, v121, 48, s[10:11]
	s_clause 0x1
	global_load_dwordx4 v[184:187], v[4:5], off offset:16
	global_load_dwordx4 v[180:183], v[4:5], off offset:32
	v_fma_f64 v[136:137], v[2:3], v[188:189], v[0:1]
	ds_read_b128 v[0:3], v44 offset:27648
	s_waitcnt vmcnt(1) lgkmcnt(0)
	v_mul_f64 v[6:7], v[2:3], v[186:187]
	v_fma_f64 v[6:7], v[0:1], v[184:185], -v[6:7]
	v_mul_f64 v[0:1], v[0:1], v[186:187]
	v_fma_f64 v[8:9], v[2:3], v[184:185], v[0:1]
	ds_read_b128 v[0:3], v44 offset:41472
	s_waitcnt vmcnt(0) lgkmcnt(0)
	v_mul_f64 v[4:5], v[2:3], v[182:183]
	v_fma_f64 v[4:5], v[0:1], v[180:181], -v[4:5]
	v_mul_f64 v[0:1], v[0:1], v[182:183]
	v_add_f64 v[54:55], v[138:139], -v[4:5]
	v_fma_f64 v[10:11], v[2:3], v[180:181], v[0:1]
	v_add_co_u32 v0, vcc_lo, 0x3000, v12
	v_add_co_ci_u32_e32 v1, vcc_lo, 0, v13, vcc_lo
	global_load_dwordx4 v[176:179], v[0:1], off offset:1440
	ds_read_b128 v[0:3], v44 offset:16128
	v_add_f64 v[52:53], v[136:137], -v[10:11]
	s_waitcnt vmcnt(0) lgkmcnt(0)
	v_mul_f64 v[14:15], v[2:3], v[178:179]
	v_fma_f64 v[64:65], v[0:1], v[176:177], -v[14:15]
	v_add_co_u32 v14, vcc_lo, 0x35a0, v12
	v_add_co_ci_u32_e32 v15, vcc_lo, 0, v13, vcc_lo
	v_mul_f64 v[0:1], v[0:1], v[178:179]
	s_clause 0x1
	global_load_dwordx4 v[172:175], v[14:15], off offset:16
	global_load_dwordx4 v[168:171], v[14:15], off offset:32
	v_fma_f64 v[26:27], v[2:3], v[176:177], v[0:1]
	ds_read_b128 v[0:3], v44 offset:29952
	s_waitcnt vmcnt(1) lgkmcnt(0)
	v_mul_f64 v[16:17], v[2:3], v[174:175]
	v_fma_f64 v[16:17], v[0:1], v[172:173], -v[16:17]
	v_mul_f64 v[0:1], v[0:1], v[174:175]
	v_fma_f64 v[18:19], v[2:3], v[172:173], v[0:1]
	ds_read_b128 v[0:3], v44 offset:43776
	s_waitcnt vmcnt(0) lgkmcnt(0)
	v_mul_f64 v[14:15], v[2:3], v[170:171]
	v_fma_f64 v[14:15], v[0:1], v[168:169], -v[14:15]
	v_mul_f64 v[0:1], v[0:1], v[170:171]
	v_add_f64 v[62:63], v[64:65], -v[14:15]
	v_fma_f64 v[56:57], v[2:3], v[168:169], v[0:1]
	v_add_co_u32 v0, vcc_lo, 0x5000, v12
	v_add_co_ci_u32_e32 v1, vcc_lo, 0, v13, vcc_lo
	global_load_dwordx4 v[130:133], v[0:1], off offset:160
	ds_read_b128 v[0:3], v44 offset:18432
	v_add_f64 v[60:61], v[26:27], -v[56:57]
	s_waitcnt vmcnt(0) lgkmcnt(0)
	v_mul_f64 v[20:21], v[2:3], v[132:133]
	v_fma_f64 v[28:29], v[0:1], v[130:131], -v[20:21]
	v_add_co_u32 v20, vcc_lo, 0x50a0, v12
	v_add_co_ci_u32_e32 v21, vcc_lo, 0, v13, vcc_lo
	v_mul_f64 v[0:1], v[0:1], v[132:133]
	;; [unrolled: 28-line block ×4, first 2 shown]
	s_clause 0x1
	global_load_dwordx4 v[98:101], v[20:21], off offset:32
	global_load_dwordx4 v[102:105], v[20:21], off offset:16
	v_fma_f64 v[38:39], v[2:3], v[106:107], v[0:1]
	ds_read_b128 v[0:3], v44 offset:36864
	s_waitcnt vmcnt(0) lgkmcnt(0)
	v_mul_f64 v[22:23], v[2:3], v[104:105]
	v_fma_f64 v[80:81], v[0:1], v[102:103], -v[22:23]
	v_mul_f64 v[0:1], v[0:1], v[104:105]
	v_fma_f64 v[82:83], v[2:3], v[102:103], v[0:1]
	ds_read_b128 v[0:3], v44 offset:50688
	s_waitcnt lgkmcnt(0)
	v_mul_f64 v[20:21], v[2:3], v[100:101]
	v_fma_f64 v[84:85], v[0:1], v[98:99], -v[20:21]
	v_mul_f64 v[0:1], v[0:1], v[100:101]
	v_fma_f64 v[134:135], v[2:3], v[98:99], v[0:1]
	v_add_co_u32 v0, vcc_lo, 0xa000, v12
	v_add_co_ci_u32_e32 v1, vcc_lo, 0, v13, vcc_lo
	v_add_co_u32 v12, vcc_lo, 0xa1a0, v12
	v_add_co_ci_u32_e32 v13, vcc_lo, 0, v13, vcc_lo
	global_load_dwordx4 v[94:97], v[0:1], off offset:416
	ds_read_b128 v[0:3], v44 offset:25344
	global_load_dwordx4 v[90:93], v[12:13], off offset:16
	v_add_f64 v[160:161], v[38:39], -v[134:135]
	v_add_f64 v[134:135], v[36:37], -v[84:85]
	s_waitcnt vmcnt(1) lgkmcnt(0)
	v_mul_f64 v[20:21], v[2:3], v[96:97]
	v_fma_f64 v[40:41], v[0:1], v[94:95], -v[20:21]
	v_mul_f64 v[0:1], v[0:1], v[96:97]
	v_fma_f64 v[42:43], v[2:3], v[94:95], v[0:1]
	ds_read_b128 v[0:3], v44 offset:39168
	s_waitcnt vmcnt(0) lgkmcnt(0)
	v_mul_f64 v[20:21], v[2:3], v[92:93]
	v_fma_f64 v[20:21], v[0:1], v[90:91], -v[20:21]
	buffer_store_dword v20, off, s[20:23], 0 offset:1120 ; 4-byte Folded Spill
	buffer_store_dword v21, off, s[20:23], 0 offset:1124 ; 4-byte Folded Spill
	global_load_dwordx4 v[86:89], v[12:13], off offset:32
	v_mul_f64 v[0:1], v[0:1], v[92:93]
	v_fma_f64 v[164:165], v[2:3], v[90:91], v[0:1]
	ds_read_b128 v[0:3], v44 offset:52992
	s_waitcnt vmcnt(0) lgkmcnt(0)
	v_mul_f64 v[12:13], v[2:3], v[88:89]
	v_fma_f64 v[162:163], v[0:1], v[86:87], -v[12:13]
	v_mul_f64 v[0:1], v[0:1], v[88:89]
	v_add_f64 v[76:77], v[40:41], -v[162:163]
	v_fma_f64 v[166:167], v[2:3], v[86:87], v[0:1]
	ds_read_b128 v[0:3], v44
	s_waitcnt lgkmcnt(0)
	v_add_f64 v[6:7], v[0:1], -v[6:7]
	v_add_f64 v[8:9], v[2:3], -v[8:9]
	v_fma_f64 v[24:25], v[0:1], 2.0, -v[6:7]
	v_fma_f64 v[46:47], v[2:3], 2.0, -v[8:9]
	v_add_f64 v[0:1], v[6:7], -v[52:53]
	v_add_f64 v[2:3], v[8:9], v[54:55]
	v_fma_f64 v[20:21], v[6:7], 2.0, -v[0:1]
	v_fma_f64 v[22:23], v[8:9], 2.0, -v[2:3]
	ds_write_b128 v44, v[0:3] offset:41472
	ds_read_b128 v[0:3], v44 offset:2304
	s_waitcnt lgkmcnt(0)
	v_add_f64 v[4:5], v[0:1], -v[16:17]
	v_add_f64 v[6:7], v[2:3], -v[18:19]
	v_fma_f64 v[48:49], v[0:1], 2.0, -v[4:5]
	v_fma_f64 v[50:51], v[2:3], 2.0, -v[6:7]
	v_add_f64 v[0:1], v[4:5], -v[60:61]
	v_add_f64 v[2:3], v[6:7], v[62:63]
	v_fma_f64 v[16:17], v[4:5], 2.0, -v[0:1]
	v_fma_f64 v[18:19], v[6:7], 2.0, -v[2:3]
	ds_write_b128 v44, v[0:3] offset:43776
	ds_read_b128 v[0:3], v44 offset:4608
	s_waitcnt lgkmcnt(0)
	v_add_f64 v[4:5], v[0:1], -v[58:59]
	v_add_f64 v[6:7], v[2:3], -v[66:67]
	v_fma_f64 v[56:57], v[0:1], 2.0, -v[4:5]
	v_fma_f64 v[58:59], v[2:3], 2.0, -v[6:7]
	v_add_f64 v[0:1], v[4:5], -v[148:149]
	v_add_f64 v[2:3], v[6:7], v[150:151]
	v_fma_f64 v[8:9], v[4:5], 2.0, -v[0:1]
	v_fma_f64 v[10:11], v[6:7], 2.0, -v[2:3]
	ds_write_b128 v44, v[0:3] offset:46080
	ds_read_b128 v[0:3], v44 offset:6912
	s_waitcnt lgkmcnt(0)
	v_add_f64 v[4:5], v[0:1], -v[72:73]
	v_add_f64 v[6:7], v[2:3], -v[74:75]
	;; [unrolled: 1-line block ×3, first 2 shown]
	v_fma_f64 v[144:145], v[0:1], 2.0, -v[4:5]
	v_fma_f64 v[146:147], v[2:3], 2.0, -v[6:7]
	v_add_f64 v[0:1], v[4:5], -v[156:157]
	v_add_f64 v[2:3], v[6:7], v[158:159]
	v_fma_f64 v[12:13], v[4:5], 2.0, -v[0:1]
	v_fma_f64 v[14:15], v[6:7], 2.0, -v[2:3]
	ds_write_b128 v44, v[0:3] offset:48384
	ds_read_b128 v[0:3], v44 offset:9216
	s_waitcnt lgkmcnt(0)
	v_add_f64 v[4:5], v[0:1], -v[80:81]
	v_add_f64 v[6:7], v[2:3], -v[82:83]
	v_fma_f64 v[152:153], v[0:1], 2.0, -v[4:5]
	v_fma_f64 v[154:155], v[2:3], 2.0, -v[6:7]
	v_add_f64 v[0:1], v[4:5], -v[160:161]
	v_add_f64 v[2:3], v[6:7], v[134:135]
	v_fma_f64 v[4:5], v[4:5], 2.0, -v[0:1]
	ds_write_b128 v44, v[0:3] offset:50688
	v_fma_f64 v[6:7], v[6:7], 2.0, -v[2:3]
	ds_read_b128 v[0:3], v44 offset:11520
	s_clause 0x1
	buffer_load_dword v66, off, s[20:23], 0 offset:1120
	buffer_load_dword v67, off, s[20:23], 0 offset:1124
	s_waitcnt lgkmcnt(0)
	v_add_f64 v[68:69], v[2:3], -v[164:165]
	v_fma_f64 v[72:73], v[2:3], 2.0, -v[68:69]
	v_add_f64 v[2:3], v[68:69], v[76:77]
	v_fma_f64 v[164:165], v[68:69], 2.0, -v[2:3]
	s_waitcnt vmcnt(0)
	v_add_f64 v[66:67], v[0:1], -v[66:67]
	v_fma_f64 v[70:71], v[0:1], 2.0, -v[66:67]
	v_add_f64 v[0:1], v[66:67], -v[74:75]
	ds_write_b128 v44, v[0:3] offset:52992
	ds_write_b128 v44, v[20:23] offset:13824
	v_fma_f64 v[162:163], v[66:67], 2.0, -v[0:1]
	v_fma_f64 v[0:1], v[138:139], 2.0, -v[54:55]
	;; [unrolled: 1-line block ×3, first 2 shown]
	v_add_f64 v[0:1], v[24:25], -v[0:1]
	v_add_f64 v[2:3], v[46:47], -v[2:3]
	ds_write_b128 v44, v[0:3] offset:27648
	ds_write_b128 v44, v[16:19] offset:16128
	v_fma_f64 v[20:21], v[24:25], 2.0, -v[0:1]
	v_fma_f64 v[22:23], v[46:47], 2.0, -v[2:3]
	;; [unrolled: 1-line block ×4, first 2 shown]
	v_add_co_u32 v46, s10, s14, v44
	v_add_co_ci_u32_e64 v47, null, s15, 0, s10
	v_add_f64 v[0:1], v[48:49], -v[0:1]
	v_add_f64 v[2:3], v[50:51], -v[2:3]
	ds_write_b128 v44, v[0:3] offset:29952
	ds_write_b128 v44, v[8:11] offset:18432
	v_fma_f64 v[16:17], v[48:49], 2.0, -v[0:1]
	v_fma_f64 v[18:19], v[50:51], 2.0, -v[2:3]
	v_fma_f64 v[0:1], v[28:29], 2.0, -v[150:151]
	v_fma_f64 v[2:3], v[30:31], 2.0, -v[148:149]
	v_add_f64 v[0:1], v[56:57], -v[0:1]
	v_add_f64 v[2:3], v[58:59], -v[2:3]
	ds_write_b128 v44, v[0:3] offset:32256
	ds_write_b128 v44, v[12:15] offset:20736
	v_fma_f64 v[8:9], v[56:57], 2.0, -v[0:1]
	v_fma_f64 v[10:11], v[58:59], 2.0, -v[2:3]
	v_fma_f64 v[0:1], v[32:33], 2.0, -v[158:159]
	v_fma_f64 v[2:3], v[34:35], 2.0, -v[156:157]
	;; [unrolled: 8-line block ×4, first 2 shown]
	v_add_f64 v[0:1], v[70:71], -v[0:1]
	v_add_f64 v[2:3], v[72:73], -v[2:3]
	v_fma_f64 v[24:25], v[70:71], 2.0, -v[0:1]
	v_fma_f64 v[26:27], v[72:73], 2.0, -v[2:3]
	ds_write_b128 v44, v[0:3] offset:39168
	ds_write_b128 v44, v[20:23]
	ds_write_b128 v44, v[16:19] offset:2304
	ds_write_b128 v44, v[8:11] offset:4608
	ds_write_b128 v44, v[12:15] offset:6912
	ds_write_b128 v44, v[4:7] offset:9216
	ds_write_b128 v44, v[24:27] offset:11520
	s_waitcnt lgkmcnt(0)
	s_waitcnt_vscnt null, 0x0
	s_barrier
	buffer_gl0_inv
	global_load_dwordx4 v[0:3], v44, s[14:15]
	ds_read_b128 v[4:7], v44
	ds_read_b128 v[160:163], v44 offset:50688
	ds_read_b128 v[52:55], v44 offset:48384
	;; [unrolled: 1-line block ×7, first 2 shown]
	s_waitcnt vmcnt(0) lgkmcnt(7)
	v_mul_f64 v[8:9], v[6:7], v[2:3]
	v_mul_f64 v[2:3], v[4:5], v[2:3]
	v_fma_f64 v[82:83], v[4:5], v[0:1], -v[8:9]
	v_fma_f64 v[84:85], v[6:7], v[0:1], v[2:3]
	v_add_co_u32 v0, vcc_lo, 0x2000, v46
	v_add_co_ci_u32_e32 v1, vcc_lo, 0, v47, vcc_lo
	ds_read_b128 v[4:7], v44 offset:9216
	global_load_dwordx4 v[0:3], v[0:1], off offset:1024
	s_waitcnt vmcnt(0) lgkmcnt(0)
	v_mul_f64 v[8:9], v[6:7], v[2:3]
	v_mul_f64 v[2:3], v[4:5], v[2:3]
	v_fma_f64 v[78:79], v[4:5], v[0:1], -v[8:9]
	v_fma_f64 v[80:81], v[6:7], v[0:1], v[2:3]
	v_add_co_u32 v0, vcc_lo, 0x4800, v46
	v_add_co_ci_u32_e32 v1, vcc_lo, 0, v47, vcc_lo
	ds_read_b128 v[4:7], v44 offset:18432
	global_load_dwordx4 v[0:3], v[0:1], off
	s_waitcnt vmcnt(0) lgkmcnt(0)
	v_mul_f64 v[8:9], v[6:7], v[2:3]
	v_mul_f64 v[2:3], v[4:5], v[2:3]
	v_fma_f64 v[74:75], v[4:5], v[0:1], -v[8:9]
	v_fma_f64 v[76:77], v[6:7], v[0:1], v[2:3]
	v_add_co_u32 v0, vcc_lo, 0x6800, v46
	v_add_co_ci_u32_e32 v1, vcc_lo, 0, v47, vcc_lo
	ds_read_b128 v[4:7], v44 offset:27648
	global_load_dwordx4 v[0:3], v[0:1], off offset:1024
	s_waitcnt vmcnt(0) lgkmcnt(0)
	v_mul_f64 v[8:9], v[6:7], v[2:3]
	v_mul_f64 v[2:3], v[4:5], v[2:3]
	v_fma_f64 v[70:71], v[4:5], v[0:1], -v[8:9]
	v_fma_f64 v[72:73], v[6:7], v[0:1], v[2:3]
	buffer_load_dword v0, off, s[20:23], 0 offset:400 ; 4-byte Folded Reload
	ds_read_b128 v[4:7], v44 offset:36864
	s_waitcnt vmcnt(0)
	global_load_dwordx4 v[0:3], v0, s[14:15]
	s_waitcnt vmcnt(0) lgkmcnt(0)
	v_mul_f64 v[8:9], v[6:7], v[2:3]
	v_mul_f64 v[2:3], v[4:5], v[2:3]
	v_fma_f64 v[66:67], v[4:5], v[0:1], -v[8:9]
	v_fma_f64 v[68:69], v[6:7], v[0:1], v[2:3]
	v_add_co_u32 v0, vcc_lo, 0xb000, v46
	v_add_co_ci_u32_e32 v1, vcc_lo, 0, v47, vcc_lo
	ds_read_b128 v[4:7], v44 offset:46080
	global_load_dwordx4 v[0:3], v[0:1], off offset:1024
	s_waitcnt vmcnt(0) lgkmcnt(0)
	v_mul_f64 v[8:9], v[6:7], v[2:3]
	v_mul_f64 v[2:3], v[4:5], v[2:3]
	v_fma_f64 v[40:41], v[4:5], v[0:1], -v[8:9]
	v_fma_f64 v[42:43], v[6:7], v[0:1], v[2:3]
	v_add_co_u32 v0, vcc_lo, 0x800, v46
	v_add_co_ci_u32_e32 v1, vcc_lo, 0, v47, vcc_lo
	ds_read_b128 v[4:7], v44 offset:2304
	global_load_dwordx4 v[0:3], v[0:1], off offset:256
	;; [unrolled: 9-line block ×5, first 2 shown]
	s_waitcnt vmcnt(0) lgkmcnt(0)
	v_mul_f64 v[8:9], v[6:7], v[2:3]
	v_mul_f64 v[2:3], v[4:5], v[2:3]
	v_fma_f64 v[24:25], v[4:5], v[0:1], -v[8:9]
	v_fma_f64 v[26:27], v[6:7], v[0:1], v[2:3]
	v_add_co_u32 v0, vcc_lo, 0x9800, v46
	v_add_co_ci_u32_e32 v1, vcc_lo, 0, v47, vcc_lo
	global_load_dwordx4 v[48:51], v[0:1], off offset:256
	ds_read_b128 v[0:3], v44 offset:39168
	s_waitcnt vmcnt(0) lgkmcnt(0)
	v_mul_f64 v[4:5], v[2:3], v[50:51]
	v_mul_f64 v[6:7], v[0:1], v[50:51]
	v_fma_f64 v[20:21], v[0:1], v[48:49], -v[4:5]
	v_add_co_u32 v0, vcc_lo, 0xb800, v46
	v_add_co_ci_u32_e32 v1, vcc_lo, 0, v47, vcc_lo
	v_fma_f64 v[22:23], v[2:3], v[48:49], v[6:7]
	global_load_dwordx4 v[48:51], v[0:1], off offset:1280
	s_waitcnt vmcnt(0)
	v_mul_f64 v[0:1], v[54:55], v[50:51]
	v_mul_f64 v[2:3], v[52:53], v[50:51]
	v_fma_f64 v[50:51], v[52:53], v[48:49], -v[0:1]
	v_add_co_u32 v0, vcc_lo, 0x1000, v46
	v_add_co_ci_u32_e32 v1, vcc_lo, 0, v47, vcc_lo
	v_fma_f64 v[52:53], v[54:55], v[48:49], v[2:3]
	global_load_dwordx4 v[54:57], v[0:1], off offset:512
	s_waitcnt vmcnt(0)
	v_mul_f64 v[0:1], v[60:61], v[56:57]
	v_mul_f64 v[2:3], v[58:59], v[56:57]
	v_fma_f64 v[56:57], v[58:59], v[54:55], -v[0:1]
	v_add_co_u32 v0, vcc_lo, 0x3000, v46
	v_add_co_ci_u32_e32 v1, vcc_lo, 0, v47, vcc_lo
	v_fma_f64 v[58:59], v[60:61], v[54:55], v[2:3]
	global_load_dwordx4 v[60:63], v[0:1], off offset:1536
	s_waitcnt vmcnt(0)
	v_mul_f64 v[0:1], v[136:137], v[62:63]
	v_mul_f64 v[2:3], v[134:135], v[62:63]
	v_fma_f64 v[62:63], v[134:135], v[60:61], -v[0:1]
	v_add_co_u32 v0, vcc_lo, 0x5800, v46
	v_add_co_ci_u32_e32 v1, vcc_lo, 0, v47, vcc_lo
	v_fma_f64 v[64:65], v[136:137], v[60:61], v[2:3]
	global_load_dwordx4 v[134:137], v[0:1], off offset:512
	s_waitcnt vmcnt(0)
	v_mul_f64 v[0:1], v[146:147], v[136:137]
	v_mul_f64 v[2:3], v[144:145], v[136:137]
	v_fma_f64 v[136:137], v[144:145], v[134:135], -v[0:1]
	v_add_co_u32 v0, vcc_lo, 0x7800, v46
	v_add_co_ci_u32_e32 v1, vcc_lo, 0, v47, vcc_lo
	v_fma_f64 v[138:139], v[146:147], v[134:135], v[2:3]
	global_load_dwordx4 v[144:147], v[0:1], off offset:1536
	s_waitcnt vmcnt(0)
	v_mul_f64 v[0:1], v[150:151], v[146:147]
	v_mul_f64 v[2:3], v[148:149], v[146:147]
	v_fma_f64 v[146:147], v[148:149], v[144:145], -v[0:1]
	v_add_co_u32 v0, vcc_lo, 0xa000, v46
	v_add_co_ci_u32_e32 v1, vcc_lo, 0, v47, vcc_lo
	v_fma_f64 v[148:149], v[150:151], v[144:145], v[2:3]
	global_load_dwordx4 v[150:153], v[0:1], off offset:512
	s_waitcnt vmcnt(0)
	v_mul_f64 v[0:1], v[156:157], v[152:153]
	v_mul_f64 v[2:3], v[154:155], v[152:153]
	v_fma_f64 v[152:153], v[154:155], v[150:151], -v[0:1]
	v_add_co_u32 v0, vcc_lo, 0xc000, v46
	v_add_co_ci_u32_e32 v1, vcc_lo, 0, v47, vcc_lo
	v_fma_f64 v[154:155], v[156:157], v[150:151], v[2:3]
	global_load_dwordx4 v[156:159], v[0:1], off offset:1536
	s_waitcnt vmcnt(0)
	v_mul_f64 v[0:1], v[162:163], v[158:159]
	v_mul_f64 v[2:3], v[160:161], v[158:159]
	v_fma_f64 v[158:159], v[160:161], v[156:157], -v[0:1]
	v_add_co_u32 v0, vcc_lo, 0x1800, v46
	v_add_co_ci_u32_e32 v1, vcc_lo, 0, v47, vcc_lo
	v_fma_f64 v[160:161], v[162:163], v[156:157], v[2:3]
	global_load_dwordx4 v[162:165], v[0:1], off offset:768
	ds_read_b128 v[0:3], v44 offset:6912
	s_waitcnt vmcnt(0) lgkmcnt(0)
	v_mul_f64 v[4:5], v[2:3], v[164:165]
	v_mul_f64 v[6:7], v[0:1], v[164:165]
	v_fma_f64 v[16:17], v[0:1], v[162:163], -v[4:5]
	v_add_co_u32 v0, vcc_lo, 0x3800, v46
	v_add_co_ci_u32_e32 v1, vcc_lo, 0, v47, vcc_lo
	v_fma_f64 v[18:19], v[2:3], v[162:163], v[6:7]
	global_load_dwordx4 v[162:165], v[0:1], off offset:1792
	ds_read_b128 v[0:3], v44 offset:16128
	s_waitcnt vmcnt(0) lgkmcnt(0)
	;; [unrolled: 9-line block ×4, first 2 shown]
	v_mul_f64 v[4:5], v[2:3], v[164:165]
	v_mul_f64 v[6:7], v[0:1], v[164:165]
	v_fma_f64 v[4:5], v[0:1], v[162:163], -v[4:5]
	v_add_co_u32 v0, vcc_lo, 0xa800, v46
	v_add_co_ci_u32_e32 v1, vcc_lo, 0, v47, vcc_lo
	v_fma_f64 v[6:7], v[2:3], v[162:163], v[6:7]
	v_add_co_u32 v46, vcc_lo, 0xc800, v46
	global_load_dwordx4 v[162:165], v[0:1], off offset:768
	ds_read_b128 v[0:3], v44 offset:43776
	v_add_co_ci_u32_e32 v47, vcc_lo, 0, v47, vcc_lo
	s_waitcnt vmcnt(0) lgkmcnt(0)
	v_mul_f64 v[48:49], v[2:3], v[164:165]
	v_mul_f64 v[54:55], v[0:1], v[164:165]
	v_fma_f64 v[0:1], v[0:1], v[162:163], -v[48:49]
	global_load_dwordx4 v[46:49], v[46:47], off offset:1792
	v_fma_f64 v[2:3], v[2:3], v[162:163], v[54:55]
	ds_read_b128 v[162:165], v44 offset:52992
	s_waitcnt vmcnt(0) lgkmcnt(0)
	v_mul_f64 v[54:55], v[164:165], v[48:49]
	v_mul_f64 v[48:49], v[162:163], v[48:49]
	v_fma_f64 v[162:163], v[162:163], v[46:47], -v[54:55]
	v_fma_f64 v[164:165], v[164:165], v[46:47], v[48:49]
	ds_write_b128 v44, v[82:85]
	ds_write_b128 v44, v[78:81] offset:9216
	ds_write_b128 v44, v[74:77] offset:18432
	;; [unrolled: 1-line block ×23, first 2 shown]
	s_waitcnt lgkmcnt(0)
	s_barrier
	buffer_gl0_inv
	ds_read_b128 v[0:3], v44
	ds_read_b128 v[4:7], v44 offset:18432
	ds_read_b128 v[8:11], v44 offset:36864
	s_waitcnt lgkmcnt(1)
	v_add_f64 v[12:13], v[0:1], v[4:5]
	v_add_f64 v[14:15], v[2:3], v[6:7]
	s_waitcnt lgkmcnt(0)
	v_add_f64 v[16:17], v[4:5], v[8:9]
	v_add_f64 v[24:25], v[6:7], -v[10:11]
	v_add_f64 v[18:19], v[6:7], v[10:11]
	v_add_f64 v[26:27], v[4:5], -v[8:9]
	v_add_f64 v[20:21], v[12:13], v[8:9]
	v_add_f64 v[22:23], v[14:15], v[10:11]
	ds_read_b128 v[4:7], v44 offset:27648
	ds_read_b128 v[8:11], v44 offset:9216
	;; [unrolled: 1-line block ×3, first 2 shown]
	v_fma_f64 v[0:1], v[16:17], -0.5, v[0:1]
	v_fma_f64 v[2:3], v[18:19], -0.5, v[2:3]
	s_waitcnt lgkmcnt(1)
	v_add_f64 v[28:29], v[8:9], v[4:5]
	s_waitcnt lgkmcnt(0)
	v_add_f64 v[32:33], v[6:7], v[14:15]
	v_add_f64 v[30:31], v[10:11], v[6:7]
	;; [unrolled: 1-line block ×3, first 2 shown]
	v_add_f64 v[38:39], v[4:5], -v[12:13]
	v_add_f64 v[36:37], v[6:7], -v[14:15]
	v_add_f64 v[4:5], v[28:29], v[12:13]
	v_fma_f64 v[12:13], v[32:33], -0.5, v[10:11]
	v_add_f64 v[6:7], v[30:31], v[14:15]
	v_fma_f64 v[14:15], v[34:35], -0.5, v[8:9]
	v_fma_f64 v[30:31], v[26:27], s[6:7], v[2:3]
	v_fma_f64 v[26:27], v[26:27], s[8:9], v[2:3]
	v_add_f64 v[16:17], v[20:21], v[4:5]
	v_add_f64 v[20:21], v[20:21], -v[4:5]
	v_fma_f64 v[4:5], v[38:39], s[6:7], v[12:13]
	v_add_f64 v[18:19], v[22:23], v[6:7]
	v_add_f64 v[22:23], v[22:23], -v[6:7]
	v_fma_f64 v[8:9], v[36:37], s[8:9], v[14:15]
	v_fma_f64 v[12:13], v[38:39], s[8:9], v[12:13]
	v_mul_f64 v[6:7], v[4:5], s[8:9]
	v_mul_f64 v[4:5], v[4:5], 0.5
	v_mul_f64 v[2:3], v[12:13], s[8:9]
	v_mul_f64 v[12:13], v[12:13], -0.5
	v_fma_f64 v[6:7], v[8:9], 0.5, v[6:7]
	v_fma_f64 v[28:29], v[8:9], s[6:7], v[4:5]
	v_fma_f64 v[4:5], v[24:25], s[8:9], v[0:1]
	;; [unrolled: 1-line block ×4, first 2 shown]
	v_add_f64 v[10:11], v[30:31], v[28:29]
	v_add_f64 v[8:9], v[4:5], v[6:7]
	v_add_f64 v[4:5], v[4:5], -v[6:7]
	v_add_f64 v[6:7], v[30:31], -v[28:29]
	v_fma_f64 v[14:15], v[0:1], -0.5, v[2:3]
	v_fma_f64 v[28:29], v[0:1], s[6:7], v[12:13]
	v_add_f64 v[0:1], v[24:25], v[14:15]
	v_add_f64 v[2:3], v[26:27], v[28:29]
	v_add_f64 v[12:13], v[24:25], -v[14:15]
	v_add_f64 v[14:15], v[26:27], -v[28:29]
	ds_read_b128 v[24:27], v44 offset:16128
	ds_read_b128 v[28:31], v44 offset:52992
	;; [unrolled: 1-line block ×18, first 2 shown]
	s_waitcnt lgkmcnt(0)
	s_barrier
	buffer_gl0_inv
	buffer_load_dword v138, off, s[20:23], 0 offset:496 ; 4-byte Folded Reload
	s_waitcnt vmcnt(0)
	ds_write_b128 v138, v[16:19]
	ds_write_b128 v138, v[20:23] offset:48
	ds_write_b128 v138, v[8:11] offset:16
	;; [unrolled: 1-line block ×5, first 2 shown]
	v_add_f64 v[0:1], v[54:55], v[50:51]
	v_add_f64 v[2:3], v[56:57], v[52:53]
	;; [unrolled: 1-line block ×4, first 2 shown]
	v_add_f64 v[18:19], v[50:51], -v[82:83]
	v_add_f64 v[14:15], v[74:75], v[144:145]
	v_add_f64 v[22:23], v[74:75], -v[144:145]
	v_add_f64 v[16:17], v[52:53], -v[84:85]
	v_add_f64 v[6:7], v[52:53], v[84:85]
	v_add_f64 v[20:21], v[76:77], -v[146:147]
	v_add_f64 v[8:9], v[0:1], v[82:83]
	v_add_f64 v[0:1], v[62:63], v[74:75]
	;; [unrolled: 1-line block ×4, first 2 shown]
	v_fma_f64 v[64:65], v[12:13], -0.5, v[64:65]
	v_fma_f64 v[54:55], v[4:5], -0.5, v[54:55]
	;; [unrolled: 1-line block ×4, first 2 shown]
	v_add_f64 v[50:51], v[0:1], v[144:145]
	v_add_f64 v[52:53], v[2:3], v[146:147]
	v_fma_f64 v[12:13], v[20:21], s[8:9], v[62:63]
	v_add_f64 v[0:1], v[8:9], v[50:51]
	v_add_f64 v[4:5], v[8:9], -v[50:51]
	v_fma_f64 v[8:9], v[22:23], s[6:7], v[64:65]
	v_add_f64 v[2:3], v[10:11], v[52:53]
	v_add_f64 v[6:7], v[10:11], -v[52:53]
	v_fma_f64 v[52:53], v[18:19], s[6:7], v[56:57]
	v_fma_f64 v[22:23], v[22:23], s[8:9], v[64:65]
	v_mul_f64 v[10:11], v[8:9], s[8:9]
	v_mul_f64 v[8:9], v[8:9], 0.5
	v_fma_f64 v[14:15], v[12:13], 0.5, v[10:11]
	v_fma_f64 v[50:51], v[12:13], s[6:7], v[8:9]
	v_fma_f64 v[12:13], v[16:17], s[8:9], v[54:55]
	v_add_f64 v[10:11], v[52:53], v[50:51]
	v_add_f64 v[8:9], v[12:13], v[14:15]
	v_add_f64 v[12:13], v[12:13], -v[14:15]
	v_add_f64 v[14:15], v[52:53], -v[50:51]
	v_fma_f64 v[50:51], v[16:17], s[6:7], v[54:55]
	v_fma_f64 v[52:53], v[18:19], s[8:9], v[56:57]
	;; [unrolled: 1-line block ×3, first 2 shown]
	v_mul_f64 v[18:19], v[22:23], s[8:9]
	v_mul_f64 v[20:21], v[22:23], -0.5
	v_fma_f64 v[22:23], v[16:17], -0.5, v[18:19]
	v_fma_f64 v[54:55], v[16:17], s[6:7], v[20:21]
	v_add_f64 v[16:17], v[50:51], v[22:23]
	v_add_f64 v[20:21], v[50:51], -v[22:23]
	buffer_load_dword v50, off, s[20:23], 0 offset:492 ; 4-byte Folded Reload
	v_add_f64 v[18:19], v[52:53], v[54:55]
	v_add_f64 v[22:23], v[52:53], -v[54:55]
	s_waitcnt vmcnt(0)
	ds_write_b128 v50, v[0:3]
	ds_write_b128 v50, v[8:11] offset:16
	ds_write_b128 v50, v[16:19] offset:32
	;; [unrolled: 1-line block ×5, first 2 shown]
	v_add_f64 v[0:1], v[58:59], v[70:71]
	v_add_f64 v[2:3], v[60:61], v[72:73]
	;; [unrolled: 1-line block ×6, first 2 shown]
	v_add_f64 v[22:23], v[78:79], -v[148:149]
	v_add_f64 v[20:21], v[80:81], -v[150:151]
	;; [unrolled: 1-line block ×4, first 2 shown]
	v_add_f64 v[8:9], v[0:1], v[134:135]
	v_add_f64 v[0:1], v[66:67], v[78:79]
	;; [unrolled: 1-line block ×4, first 2 shown]
	v_fma_f64 v[54:55], v[4:5], -0.5, v[58:59]
	v_fma_f64 v[58:59], v[12:13], -0.5, v[68:69]
	v_fma_f64 v[56:57], v[6:7], -0.5, v[60:61]
	v_fma_f64 v[60:61], v[14:15], -0.5, v[66:67]
	v_add_f64 v[50:51], v[0:1], v[148:149]
	v_add_f64 v[52:53], v[2:3], v[150:151]
	v_fma_f64 v[12:13], v[20:21], s[8:9], v[60:61]
	v_add_f64 v[0:1], v[8:9], v[50:51]
	v_add_f64 v[4:5], v[8:9], -v[50:51]
	v_fma_f64 v[8:9], v[22:23], s[6:7], v[58:59]
	v_add_f64 v[2:3], v[10:11], v[52:53]
	v_add_f64 v[6:7], v[10:11], -v[52:53]
	v_fma_f64 v[52:53], v[18:19], s[6:7], v[56:57]
	v_fma_f64 v[22:23], v[22:23], s[8:9], v[58:59]
	v_mul_f64 v[10:11], v[8:9], s[8:9]
	v_mul_f64 v[8:9], v[8:9], 0.5
	v_fma_f64 v[14:15], v[12:13], 0.5, v[10:11]
	v_fma_f64 v[50:51], v[12:13], s[6:7], v[8:9]
	v_fma_f64 v[12:13], v[16:17], s[8:9], v[54:55]
	v_add_f64 v[10:11], v[52:53], v[50:51]
	v_add_f64 v[8:9], v[12:13], v[14:15]
	v_add_f64 v[12:13], v[12:13], -v[14:15]
	v_add_f64 v[14:15], v[52:53], -v[50:51]
	v_fma_f64 v[50:51], v[16:17], s[6:7], v[54:55]
	v_fma_f64 v[52:53], v[18:19], s[8:9], v[56:57]
	;; [unrolled: 1-line block ×3, first 2 shown]
	v_mul_f64 v[18:19], v[22:23], s[8:9]
	v_mul_f64 v[20:21], v[22:23], -0.5
	v_fma_f64 v[22:23], v[16:17], -0.5, v[18:19]
	v_fma_f64 v[54:55], v[16:17], s[6:7], v[20:21]
	v_add_f64 v[16:17], v[50:51], v[22:23]
	v_add_f64 v[20:21], v[50:51], -v[22:23]
	buffer_load_dword v50, off, s[20:23], 0 offset:488 ; 4-byte Folded Reload
	v_add_f64 v[18:19], v[52:53], v[54:55]
	v_add_f64 v[22:23], v[52:53], -v[54:55]
	s_waitcnt vmcnt(0)
	ds_write_b128 v50, v[0:3]
	ds_write_b128 v50, v[8:11] offset:16
	ds_write_b128 v50, v[16:19] offset:32
	;; [unrolled: 1-line block ×5, first 2 shown]
	v_add_f64 v[0:1], v[36:37], v[40:41]
	v_add_f64 v[2:3], v[38:39], v[42:43]
	;; [unrolled: 1-line block ×5, first 2 shown]
	v_add_f64 v[22:23], v[32:33], -v[28:29]
	v_add_f64 v[6:7], v[42:43], v[48:49]
	v_add_f64 v[20:21], v[34:35], -v[30:31]
	v_add_f64 v[16:17], v[42:43], -v[48:49]
	;; [unrolled: 1-line block ×3, first 2 shown]
	v_add_f64 v[8:9], v[0:1], v[46:47]
	v_add_f64 v[0:1], v[24:25], v[32:33]
	;; [unrolled: 1-line block ×4, first 2 shown]
	v_fma_f64 v[26:27], v[12:13], -0.5, v[26:27]
	v_fma_f64 v[32:33], v[4:5], -0.5, v[36:37]
	;; [unrolled: 1-line block ×4, first 2 shown]
	v_add_f64 v[28:29], v[0:1], v[28:29]
	v_add_f64 v[30:31], v[2:3], v[30:31]
	v_fma_f64 v[12:13], v[20:21], s[8:9], v[24:25]
	v_add_f64 v[0:1], v[8:9], v[28:29]
	v_add_f64 v[4:5], v[8:9], -v[28:29]
	v_fma_f64 v[8:9], v[22:23], s[6:7], v[26:27]
	v_add_f64 v[2:3], v[10:11], v[30:31]
	v_add_f64 v[6:7], v[10:11], -v[30:31]
	v_fma_f64 v[30:31], v[18:19], s[6:7], v[34:35]
	v_fma_f64 v[22:23], v[22:23], s[8:9], v[26:27]
	;; [unrolled: 1-line block ×3, first 2 shown]
	v_mul_f64 v[10:11], v[8:9], s[8:9]
	v_mul_f64 v[8:9], v[8:9], 0.5
	v_fma_f64 v[14:15], v[12:13], 0.5, v[10:11]
	v_fma_f64 v[28:29], v[12:13], s[6:7], v[8:9]
	v_fma_f64 v[12:13], v[16:17], s[8:9], v[32:33]
	;; [unrolled: 1-line block ×3, first 2 shown]
	v_mul_f64 v[20:21], v[22:23], -0.5
	v_add_f64 v[10:11], v[30:31], v[28:29]
	v_add_f64 v[8:9], v[12:13], v[14:15]
	v_add_f64 v[12:13], v[12:13], -v[14:15]
	v_add_f64 v[14:15], v[30:31], -v[28:29]
	v_fma_f64 v[28:29], v[18:19], s[8:9], v[34:35]
	v_mul_f64 v[18:19], v[22:23], s[8:9]
	v_fma_f64 v[24:25], v[16:17], s[6:7], v[20:21]
	v_fma_f64 v[22:23], v[16:17], -0.5, v[18:19]
	v_add_f64 v[18:19], v[28:29], v[24:25]
	v_add_f64 v[16:17], v[26:27], v[22:23]
	v_add_f64 v[20:21], v[26:27], -v[22:23]
	v_add_f64 v[22:23], v[28:29], -v[24:25]
	buffer_load_dword v24, off, s[20:23], 0 offset:484 ; 4-byte Folded Reload
	s_waitcnt vmcnt(0)
	ds_write_b128 v24, v[0:3]
	ds_write_b128 v24, v[8:11] offset:16
	ds_write_b128 v24, v[16:19] offset:32
	;; [unrolled: 1-line block ×5, first 2 shown]
	s_waitcnt lgkmcnt(0)
	s_barrier
	buffer_gl0_inv
	ds_read_b128 v[0:3], v44 offset:9216
	s_clause 0x3
	buffer_load_dword v6, off, s[20:23], 0 offset:404
	buffer_load_dword v7, off, s[20:23], 0 offset:408
	buffer_load_dword v8, off, s[20:23], 0 offset:412
	buffer_load_dword v9, off, s[20:23], 0 offset:416
	s_waitcnt vmcnt(0) lgkmcnt(0)
	v_mul_f64 v[4:5], v[8:9], v[2:3]
	v_fma_f64 v[4:5], v[6:7], v[0:1], v[4:5]
	v_mul_f64 v[0:1], v[8:9], v[0:1]
	v_fma_f64 v[6:7], v[6:7], v[2:3], -v[0:1]
	ds_read_b128 v[0:3], v44 offset:18432
	s_clause 0x3
	buffer_load_dword v14, off, s[20:23], 0 offset:420
	buffer_load_dword v15, off, s[20:23], 0 offset:424
	buffer_load_dword v16, off, s[20:23], 0 offset:428
	buffer_load_dword v17, off, s[20:23], 0 offset:432
	s_waitcnt vmcnt(0) lgkmcnt(0)
	v_mul_f64 v[8:9], v[16:17], v[2:3]
	v_fma_f64 v[12:13], v[14:15], v[0:1], v[8:9]
	v_mul_f64 v[0:1], v[16:17], v[0:1]
	v_fma_f64 v[14:15], v[14:15], v[2:3], -v[0:1]
	;; [unrolled: 11-line block ×19, first 2 shown]
	ds_read_b128 v[0:3], v44 offset:52992
	s_clause 0x3
	buffer_load_dword v68, off, s[20:23], 0 offset:740
	buffer_load_dword v69, off, s[20:23], 0 offset:744
	;; [unrolled: 1-line block ×4, first 2 shown]
	s_waitcnt vmcnt(0) lgkmcnt(0)
	v_mul_f64 v[8:9], v[70:71], v[2:3]
	v_fma_f64 v[42:43], v[68:69], v[0:1], v[8:9]
	v_mul_f64 v[0:1], v[70:71], v[0:1]
	v_add_f64 v[8:9], v[12:13], v[20:21]
	v_fma_f64 v[40:41], v[68:69], v[2:3], -v[0:1]
	ds_read_b128 v[0:3], v44
	s_waitcnt lgkmcnt(0)
	v_fma_f64 v[68:69], v[8:9], -0.5, v[0:1]
	v_add_f64 v[8:9], v[14:15], v[22:23]
	v_add_f64 v[0:1], v[0:1], v[12:13]
	v_fma_f64 v[70:71], v[8:9], -0.5, v[2:3]
	v_add_f64 v[8:9], v[4:5], v[16:17]
	v_add_f64 v[0:1], v[0:1], v[20:21]
	;; [unrolled: 1-line block ×3, first 2 shown]
	v_add_f64 v[20:21], v[12:13], -v[20:21]
	v_add_f64 v[72:73], v[8:9], v[64:65]
	v_add_f64 v[8:9], v[6:7], v[18:19]
	;; [unrolled: 1-line block ×3, first 2 shown]
	v_add_f64 v[22:23], v[14:15], -v[22:23]
	v_add_f64 v[74:75], v[8:9], v[66:67]
	v_add_f64 v[8:9], v[0:1], v[72:73]
	v_add_f64 v[0:1], v[0:1], -v[72:73]
	v_add_f64 v[72:73], v[16:17], v[64:65]
	v_add_f64 v[16:17], v[16:17], -v[64:65]
	;; [unrolled: 2-line block ×4, first 2 shown]
	v_fma_f64 v[74:75], v[20:21], s[6:7], v[70:71]
	v_fma_f64 v[66:67], v[72:73], -0.5, v[4:5]
	v_fma_f64 v[20:21], v[20:21], s[8:9], v[70:71]
	v_fma_f64 v[64:65], v[64:65], -0.5, v[6:7]
	v_fma_f64 v[12:13], v[18:19], s[8:9], v[66:67]
	v_fma_f64 v[18:19], v[18:19], s[6:7], v[66:67]
	;; [unrolled: 1-line block ×4, first 2 shown]
	v_mul_f64 v[6:7], v[4:5], s[8:9]
	v_mul_f64 v[4:5], v[4:5], 0.5
	v_mul_f64 v[64:65], v[16:17], s[8:9]
	v_mul_f64 v[16:17], v[16:17], -0.5
	v_fma_f64 v[6:7], v[12:13], 0.5, v[6:7]
	v_fma_f64 v[72:73], v[12:13], s[6:7], v[4:5]
	v_fma_f64 v[4:5], v[22:23], s[8:9], v[68:69]
	;; [unrolled: 1-line block ×3, first 2 shown]
	v_fma_f64 v[64:65], v[18:19], -0.5, v[64:65]
	v_fma_f64 v[18:19], v[18:19], s[6:7], v[16:17]
	v_add_f64 v[14:15], v[74:75], v[72:73]
	v_add_f64 v[12:13], v[4:5], v[6:7]
	v_add_f64 v[4:5], v[4:5], -v[6:7]
	v_add_f64 v[6:7], v[74:75], -v[72:73]
	v_add_f64 v[164:165], v[22:23], v[64:65]
	v_add_f64 v[166:167], v[20:21], v[18:19]
	v_add_f64 v[16:17], v[22:23], -v[64:65]
	v_add_f64 v[18:19], v[20:21], -v[18:19]
	ds_read_b128 v[20:23], v44 offset:6912
	ds_read_b128 v[64:67], v44 offset:2304
	;; [unrolled: 1-line block ×3, first 2 shown]
	s_waitcnt lgkmcnt(0)
	s_barrier
	buffer_gl0_inv
	buffer_load_dword v72, off, s[20:23], 0 offset:672 ; 4-byte Folded Reload
	s_waitcnt vmcnt(0)
	ds_write_b128 v72, v[8:11]
	ds_write_b128 v72, v[0:3] offset:288
	ds_write_b128 v72, v[12:15] offset:96
	;; [unrolled: 1-line block ×5, first 2 shown]
	v_add_f64 v[0:1], v[30:31], v[26:27]
	v_add_f64 v[2:3], v[66:67], v[150:151]
	v_add_f64 v[72:73], v[150:151], -v[146:147]
	v_fma_f64 v[16:17], v[0:1], -0.5, v[64:65]
	v_add_f64 v[0:1], v[150:151], v[146:147]
	v_add_f64 v[6:7], v[2:3], v[146:147]
	v_fma_f64 v[18:19], v[0:1], -0.5, v[66:67]
	v_add_f64 v[0:1], v[64:65], v[30:31]
	v_add_f64 v[64:65], v[148:149], -v[144:145]
	v_add_f64 v[4:5], v[0:1], v[26:27]
	v_add_f64 v[0:1], v[56:57], v[148:149]
	v_add_f64 v[26:27], v[30:31], -v[26:27]
	v_add_f64 v[8:9], v[0:1], v[144:145]
	v_add_f64 v[0:1], v[152:153], v[28:29]
	;; [unrolled: 1-line block ×4, first 2 shown]
	v_add_f64 v[4:5], v[4:5], -v[8:9]
	v_add_f64 v[8:9], v[148:149], v[144:145]
	v_add_f64 v[2:3], v[6:7], v[10:11]
	v_add_f64 v[6:7], v[6:7], -v[10:11]
	v_add_f64 v[10:11], v[28:29], v[24:25]
	v_add_f64 v[24:25], v[28:29], -v[24:25]
	v_fma_f64 v[28:29], v[8:9], -0.5, v[56:57]
	v_fma_f64 v[56:57], v[26:27], s[6:7], v[18:19]
	v_fma_f64 v[26:27], v[26:27], s[8:9], v[18:19]
	v_fma_f64 v[66:67], v[10:11], -0.5, v[152:153]
	v_fma_f64 v[12:13], v[24:25], s[8:9], v[28:29]
	v_fma_f64 v[8:9], v[64:65], s[6:7], v[66:67]
	v_mul_f64 v[10:11], v[8:9], s[8:9]
	v_mul_f64 v[8:9], v[8:9], 0.5
	v_fma_f64 v[14:15], v[12:13], 0.5, v[10:11]
	v_fma_f64 v[30:31], v[12:13], s[6:7], v[8:9]
	v_fma_f64 v[12:13], v[72:73], s[8:9], v[16:17]
	v_add_f64 v[10:11], v[56:57], v[30:31]
	v_add_f64 v[8:9], v[12:13], v[14:15]
	v_add_f64 v[12:13], v[12:13], -v[14:15]
	v_add_f64 v[14:15], v[56:57], -v[30:31]
	v_fma_f64 v[30:31], v[64:65], s[8:9], v[66:67]
	v_fma_f64 v[56:57], v[72:73], s[6:7], v[16:17]
	;; [unrolled: 1-line block ×3, first 2 shown]
	v_mul_f64 v[18:19], v[30:31], s[8:9]
	v_mul_f64 v[24:25], v[30:31], -0.5
	v_fma_f64 v[28:29], v[16:17], -0.5, v[18:19]
	v_fma_f64 v[30:31], v[16:17], s[6:7], v[24:25]
	v_add_f64 v[16:17], v[56:57], v[28:29]
	v_add_f64 v[24:25], v[56:57], -v[28:29]
	buffer_load_dword v28, off, s[20:23], 0 offset:572 ; 4-byte Folded Reload
	v_add_f64 v[18:19], v[26:27], v[30:31]
	v_add_f64 v[26:27], v[26:27], -v[30:31]
	s_waitcnt vmcnt(0)
	ds_write_b128 v28, v[0:3]
	ds_write_b128 v28, v[8:11] offset:96
	ds_write_b128 v28, v[16:19] offset:192
	ds_write_b128 v28, v[4:7] offset:288
	ds_write_b128 v28, v[12:15] offset:384
	ds_write_b128 v28, v[24:27] offset:480
	v_add_f64 v[0:1], v[38:39], v[34:35]
	v_add_f64 v[2:3], v[70:71], v[160:161]
	v_add_f64 v[24:25], v[158:159], -v[154:155]
	v_add_f64 v[30:31], v[38:39], -v[34:35]
	;; [unrolled: 1-line block ×3, first 2 shown]
	v_fma_f64 v[16:17], v[0:1], -0.5, v[68:69]
	v_add_f64 v[0:1], v[160:161], v[156:157]
	v_add_f64 v[6:7], v[2:3], v[156:157]
	v_fma_f64 v[18:19], v[0:1], -0.5, v[70:71]
	v_add_f64 v[0:1], v[68:69], v[38:39]
	v_fma_f64 v[38:39], v[30:31], s[6:7], v[18:19]
	v_add_f64 v[4:5], v[0:1], v[34:35]
	v_add_f64 v[0:1], v[58:59], v[158:159]
	;; [unrolled: 1-line block ×6, first 2 shown]
	v_add_f64 v[4:5], v[4:5], -v[8:9]
	v_add_f64 v[8:9], v[158:159], v[154:155]
	v_add_f64 v[2:3], v[6:7], v[10:11]
	v_add_f64 v[6:7], v[6:7], -v[10:11]
	v_add_f64 v[10:11], v[36:37], v[32:33]
	v_add_f64 v[32:33], v[36:37], -v[32:33]
	v_fma_f64 v[34:35], v[8:9], -0.5, v[58:59]
	v_fma_f64 v[26:27], v[10:11], -0.5, v[162:163]
	v_fma_f64 v[12:13], v[32:33], s[8:9], v[34:35]
	v_fma_f64 v[8:9], v[24:25], s[6:7], v[26:27]
	;; [unrolled: 1-line block ×4, first 2 shown]
	v_mul_f64 v[10:11], v[8:9], s[8:9]
	v_mul_f64 v[8:9], v[8:9], 0.5
	v_fma_f64 v[14:15], v[12:13], 0.5, v[10:11]
	v_fma_f64 v[36:37], v[12:13], s[6:7], v[8:9]
	v_fma_f64 v[12:13], v[28:29], s[8:9], v[16:17]
	;; [unrolled: 1-line block ×4, first 2 shown]
	v_mul_f64 v[18:19], v[24:25], s[8:9]
	v_mul_f64 v[24:25], v[24:25], -0.5
	v_add_f64 v[10:11], v[38:39], v[36:37]
	v_add_f64 v[8:9], v[12:13], v[14:15]
	v_add_f64 v[12:13], v[12:13], -v[14:15]
	v_add_f64 v[14:15], v[38:39], -v[36:37]
	v_fma_f64 v[30:31], v[16:17], -0.5, v[18:19]
	v_fma_f64 v[32:33], v[16:17], s[6:7], v[24:25]
	v_add_f64 v[16:17], v[26:27], v[30:31]
	v_add_f64 v[18:19], v[28:29], v[32:33]
	v_add_f64 v[24:25], v[26:27], -v[30:31]
	v_add_f64 v[26:27], v[28:29], -v[32:33]
	buffer_load_dword v28, off, s[20:23], 0 offset:504 ; 4-byte Folded Reload
	s_waitcnt vmcnt(0)
	ds_write_b128 v28, v[0:3]
	ds_write_b128 v28, v[8:11] offset:96
	ds_write_b128 v28, v[16:19] offset:192
	;; [unrolled: 1-line block ×5, first 2 shown]
	v_add_f64 v[0:1], v[54:55], v[46:47]
	v_add_f64 v[2:3], v[22:23], v[52:53]
	v_add_f64 v[28:29], v[50:51], -v[40:41]
	v_add_f64 v[24:25], v[52:53], -v[136:137]
	;; [unrolled: 1-line block ×3, first 2 shown]
	v_fma_f64 v[16:17], v[0:1], -0.5, v[20:21]
	v_add_f64 v[0:1], v[52:53], v[136:137]
	v_add_f64 v[6:7], v[2:3], v[136:137]
	v_fma_f64 v[18:19], v[0:1], -0.5, v[22:23]
	v_add_f64 v[0:1], v[20:21], v[54:55]
	v_add_f64 v[20:21], v[48:49], -v[42:43]
	v_fma_f64 v[34:35], v[26:27], s[6:7], v[18:19]
	v_add_f64 v[4:5], v[0:1], v[46:47]
	v_add_f64 v[0:1], v[62:63], v[48:49]
	;; [unrolled: 1-line block ×6, first 2 shown]
	v_add_f64 v[4:5], v[4:5], -v[8:9]
	v_add_f64 v[8:9], v[48:49], v[42:43]
	v_add_f64 v[2:3], v[6:7], v[10:11]
	v_add_f64 v[6:7], v[6:7], -v[10:11]
	v_add_f64 v[10:11], v[50:51], v[40:41]
	v_fma_f64 v[30:31], v[8:9], -0.5, v[62:63]
	v_fma_f64 v[22:23], v[10:11], -0.5, v[60:61]
	v_fma_f64 v[12:13], v[28:29], s[8:9], v[30:31]
	v_fma_f64 v[8:9], v[20:21], s[6:7], v[22:23]
	;; [unrolled: 1-line block ×4, first 2 shown]
	v_mul_f64 v[10:11], v[8:9], s[8:9]
	v_mul_f64 v[8:9], v[8:9], 0.5
	v_fma_f64 v[14:15], v[12:13], 0.5, v[10:11]
	v_fma_f64 v[32:33], v[12:13], s[6:7], v[8:9]
	v_fma_f64 v[12:13], v[24:25], s[8:9], v[16:17]
	;; [unrolled: 1-line block ×4, first 2 shown]
	v_mul_f64 v[18:19], v[20:21], s[8:9]
	v_mul_f64 v[20:21], v[20:21], -0.5
	v_add_f64 v[10:11], v[34:35], v[32:33]
	v_add_f64 v[8:9], v[12:13], v[14:15]
	v_add_f64 v[12:13], v[12:13], -v[14:15]
	v_add_f64 v[14:15], v[34:35], -v[32:33]
	v_fma_f64 v[26:27], v[16:17], -0.5, v[18:19]
	v_fma_f64 v[28:29], v[16:17], s[6:7], v[20:21]
	v_add_f64 v[16:17], v[22:23], v[26:27]
	v_add_f64 v[18:19], v[24:25], v[28:29]
	v_add_f64 v[20:21], v[22:23], -v[26:27]
	v_add_f64 v[22:23], v[24:25], -v[28:29]
	buffer_load_dword v24, off, s[20:23], 0 offset:500 ; 4-byte Folded Reload
	s_waitcnt vmcnt(0)
	ds_write_b128 v24, v[0:3]
	ds_write_b128 v24, v[8:11] offset:96
	ds_write_b128 v24, v[16:19] offset:192
	;; [unrolled: 1-line block ×5, first 2 shown]
	s_waitcnt lgkmcnt(0)
	s_barrier
	buffer_gl0_inv
	ds_read_b128 v[0:3], v44 offset:9216
	s_clause 0x3
	buffer_load_dword v6, off, s[20:23], 0 offset:756
	buffer_load_dword v7, off, s[20:23], 0 offset:760
	buffer_load_dword v8, off, s[20:23], 0 offset:764
	buffer_load_dword v9, off, s[20:23], 0 offset:768
	s_waitcnt vmcnt(0) lgkmcnt(0)
	v_mul_f64 v[4:5], v[8:9], v[2:3]
	v_fma_f64 v[4:5], v[6:7], v[0:1], v[4:5]
	v_mul_f64 v[0:1], v[8:9], v[0:1]
	v_fma_f64 v[6:7], v[6:7], v[2:3], -v[0:1]
	ds_read_b128 v[0:3], v44 offset:18432
	s_clause 0x3
	buffer_load_dword v14, off, s[20:23], 0 offset:772
	buffer_load_dword v15, off, s[20:23], 0 offset:776
	buffer_load_dword v16, off, s[20:23], 0 offset:780
	buffer_load_dword v17, off, s[20:23], 0 offset:784
	s_waitcnt vmcnt(0) lgkmcnt(0)
	v_mul_f64 v[8:9], v[16:17], v[2:3]
	v_fma_f64 v[12:13], v[14:15], v[0:1], v[8:9]
	v_mul_f64 v[0:1], v[16:17], v[0:1]
	v_fma_f64 v[14:15], v[14:15], v[2:3], -v[0:1]
	;; [unrolled: 11-line block ×19, first 2 shown]
	ds_read_b128 v[0:3], v44 offset:52992
	s_clause 0x3
	buffer_load_dword v68, off, s[20:23], 0 offset:1060
	buffer_load_dword v69, off, s[20:23], 0 offset:1064
	;; [unrolled: 1-line block ×4, first 2 shown]
	s_waitcnt vmcnt(0) lgkmcnt(0)
	v_mul_f64 v[8:9], v[70:71], v[2:3]
	v_fma_f64 v[42:43], v[68:69], v[0:1], v[8:9]
	v_mul_f64 v[0:1], v[70:71], v[0:1]
	v_add_f64 v[8:9], v[12:13], v[20:21]
	v_fma_f64 v[40:41], v[68:69], v[2:3], -v[0:1]
	ds_read_b128 v[0:3], v44
	s_waitcnt lgkmcnt(0)
	v_fma_f64 v[68:69], v[8:9], -0.5, v[0:1]
	v_add_f64 v[8:9], v[14:15], v[22:23]
	v_add_f64 v[0:1], v[0:1], v[12:13]
	v_fma_f64 v[70:71], v[8:9], -0.5, v[2:3]
	v_add_f64 v[8:9], v[4:5], v[16:17]
	v_add_f64 v[0:1], v[0:1], v[20:21]
	;; [unrolled: 1-line block ×3, first 2 shown]
	v_add_f64 v[20:21], v[12:13], -v[20:21]
	v_add_f64 v[72:73], v[8:9], v[64:65]
	v_add_f64 v[8:9], v[6:7], v[18:19]
	;; [unrolled: 1-line block ×3, first 2 shown]
	v_add_f64 v[22:23], v[14:15], -v[22:23]
	v_add_f64 v[74:75], v[8:9], v[66:67]
	v_add_f64 v[8:9], v[0:1], v[72:73]
	v_add_f64 v[0:1], v[0:1], -v[72:73]
	v_add_f64 v[72:73], v[16:17], v[64:65]
	v_add_f64 v[16:17], v[16:17], -v[64:65]
	;; [unrolled: 2-line block ×4, first 2 shown]
	v_fma_f64 v[74:75], v[20:21], s[6:7], v[70:71]
	v_fma_f64 v[66:67], v[72:73], -0.5, v[4:5]
	v_fma_f64 v[20:21], v[20:21], s[8:9], v[70:71]
	v_fma_f64 v[64:65], v[64:65], -0.5, v[6:7]
	v_fma_f64 v[12:13], v[18:19], s[8:9], v[66:67]
	v_fma_f64 v[18:19], v[18:19], s[6:7], v[66:67]
	;; [unrolled: 1-line block ×4, first 2 shown]
	v_mul_f64 v[6:7], v[4:5], s[8:9]
	v_mul_f64 v[4:5], v[4:5], 0.5
	v_mul_f64 v[64:65], v[16:17], s[8:9]
	v_mul_f64 v[16:17], v[16:17], -0.5
	v_fma_f64 v[6:7], v[12:13], 0.5, v[6:7]
	v_fma_f64 v[72:73], v[12:13], s[6:7], v[4:5]
	v_fma_f64 v[4:5], v[22:23], s[8:9], v[68:69]
	;; [unrolled: 1-line block ×3, first 2 shown]
	v_fma_f64 v[64:65], v[18:19], -0.5, v[64:65]
	v_fma_f64 v[18:19], v[18:19], s[6:7], v[16:17]
	v_add_f64 v[14:15], v[74:75], v[72:73]
	v_add_f64 v[12:13], v[4:5], v[6:7]
	v_add_f64 v[4:5], v[4:5], -v[6:7]
	v_add_f64 v[6:7], v[74:75], -v[72:73]
	v_add_f64 v[164:165], v[22:23], v[64:65]
	v_add_f64 v[166:167], v[20:21], v[18:19]
	v_add_f64 v[16:17], v[22:23], -v[64:65]
	v_add_f64 v[18:19], v[20:21], -v[18:19]
	ds_read_b128 v[20:23], v44 offset:6912
	ds_read_b128 v[64:67], v44 offset:2304
	ds_read_b128 v[68:71], v44 offset:4608
	s_waitcnt lgkmcnt(0)
	s_barrier
	buffer_gl0_inv
	buffer_load_dword v72, off, s[20:23], 0 offset:1100 ; 4-byte Folded Reload
	s_waitcnt vmcnt(0)
	ds_write_b128 v72, v[8:11]
	ds_write_b128 v72, v[0:3] offset:1728
	ds_write_b128 v72, v[12:15] offset:576
	;; [unrolled: 1-line block ×5, first 2 shown]
	v_add_f64 v[0:1], v[56:57], v[60:61]
	v_add_f64 v[2:3], v[66:67], v[150:151]
	v_add_f64 v[72:73], v[150:151], -v[146:147]
	v_fma_f64 v[16:17], v[0:1], -0.5, v[64:65]
	v_add_f64 v[0:1], v[150:151], v[146:147]
	v_add_f64 v[6:7], v[2:3], v[146:147]
	v_fma_f64 v[18:19], v[0:1], -0.5, v[66:67]
	v_add_f64 v[0:1], v[64:65], v[56:57]
	v_add_f64 v[64:65], v[148:149], -v[144:145]
	v_add_f64 v[56:57], v[56:57], -v[60:61]
	v_add_f64 v[4:5], v[0:1], v[60:61]
	v_add_f64 v[0:1], v[54:55], v[148:149]
	;; [unrolled: 1-line block ×6, first 2 shown]
	v_add_f64 v[4:5], v[4:5], -v[8:9]
	v_add_f64 v[8:9], v[148:149], v[144:145]
	v_add_f64 v[2:3], v[6:7], v[10:11]
	v_add_f64 v[6:7], v[6:7], -v[10:11]
	v_add_f64 v[10:11], v[58:59], v[62:63]
	v_add_f64 v[58:59], v[58:59], -v[62:63]
	v_fma_f64 v[54:55], v[8:9], -0.5, v[54:55]
	v_fma_f64 v[62:63], v[56:57], s[6:7], v[18:19]
	v_fma_f64 v[56:57], v[56:57], s[8:9], v[18:19]
	v_fma_f64 v[66:67], v[10:11], -0.5, v[152:153]
	v_fma_f64 v[12:13], v[58:59], s[8:9], v[54:55]
	v_fma_f64 v[8:9], v[64:65], s[6:7], v[66:67]
	v_mul_f64 v[10:11], v[8:9], s[8:9]
	v_mul_f64 v[8:9], v[8:9], 0.5
	v_fma_f64 v[14:15], v[12:13], 0.5, v[10:11]
	v_fma_f64 v[60:61], v[12:13], s[6:7], v[8:9]
	v_fma_f64 v[12:13], v[72:73], s[8:9], v[16:17]
	v_add_f64 v[10:11], v[62:63], v[60:61]
	v_add_f64 v[8:9], v[12:13], v[14:15]
	v_add_f64 v[12:13], v[12:13], -v[14:15]
	v_add_f64 v[14:15], v[62:63], -v[60:61]
	v_fma_f64 v[60:61], v[64:65], s[8:9], v[66:67]
	v_fma_f64 v[62:63], v[72:73], s[6:7], v[16:17]
	;; [unrolled: 1-line block ×3, first 2 shown]
	v_mul_f64 v[18:19], v[60:61], s[8:9]
	v_mul_f64 v[54:55], v[60:61], -0.5
	v_fma_f64 v[58:59], v[16:17], -0.5, v[18:19]
	v_fma_f64 v[60:61], v[16:17], s[6:7], v[54:55]
	v_add_f64 v[16:17], v[62:63], v[58:59]
	v_add_f64 v[18:19], v[56:57], v[60:61]
	v_add_f64 v[54:55], v[62:63], -v[58:59]
	v_add_f64 v[56:57], v[56:57], -v[60:61]
	ds_write_b128 v45, v[0:3]
	ds_write_b128 v45, v[8:11] offset:576
	ds_write_b128 v45, v[16:19] offset:1152
	;; [unrolled: 1-line block ×5, first 2 shown]
	v_add_f64 v[0:1], v[46:47], v[50:51]
	v_add_f64 v[2:3], v[70:71], v[160:161]
	v_add_f64 v[54:55], v[158:159], -v[154:155]
	v_add_f64 v[58:59], v[160:161], -v[156:157]
	v_fma_f64 v[16:17], v[0:1], -0.5, v[68:69]
	v_add_f64 v[0:1], v[160:161], v[156:157]
	v_add_f64 v[6:7], v[2:3], v[156:157]
	v_fma_f64 v[18:19], v[0:1], -0.5, v[70:71]
	v_add_f64 v[0:1], v[68:69], v[46:47]
	v_add_f64 v[45:46], v[46:47], -v[50:51]
	v_add_f64 v[4:5], v[0:1], v[50:51]
	v_add_f64 v[0:1], v[136:137], v[158:159]
	v_fma_f64 v[60:61], v[45:46], s[6:7], v[18:19]
	v_add_f64 v[8:9], v[0:1], v[154:155]
	v_add_f64 v[0:1], v[162:163], v[48:49]
	;; [unrolled: 1-line block ×4, first 2 shown]
	v_add_f64 v[4:5], v[4:5], -v[8:9]
	v_add_f64 v[8:9], v[158:159], v[154:155]
	v_add_f64 v[2:3], v[6:7], v[10:11]
	v_add_f64 v[6:7], v[6:7], -v[10:11]
	v_add_f64 v[10:11], v[48:49], v[52:53]
	v_add_f64 v[47:48], v[48:49], -v[52:53]
	v_fma_f64 v[49:50], v[8:9], -0.5, v[136:137]
	v_fma_f64 v[56:57], v[10:11], -0.5, v[162:163]
	v_fma_f64 v[12:13], v[47:48], s[8:9], v[49:50]
	v_fma_f64 v[8:9], v[54:55], s[6:7], v[56:57]
	v_mul_f64 v[10:11], v[8:9], s[8:9]
	v_mul_f64 v[8:9], v[8:9], 0.5
	v_fma_f64 v[14:15], v[12:13], 0.5, v[10:11]
	v_fma_f64 v[51:52], v[12:13], s[6:7], v[8:9]
	v_fma_f64 v[12:13], v[58:59], s[8:9], v[16:17]
	v_add_f64 v[10:11], v[60:61], v[51:52]
	v_add_f64 v[8:9], v[12:13], v[14:15]
	v_add_f64 v[12:13], v[12:13], -v[14:15]
	v_add_f64 v[14:15], v[60:61], -v[51:52]
	v_fma_f64 v[51:52], v[54:55], s[8:9], v[56:57]
	v_fma_f64 v[53:54], v[58:59], s[6:7], v[16:17]
	;; [unrolled: 1-line block ×4, first 2 shown]
	v_mul_f64 v[18:19], v[51:52], s[8:9]
	v_mul_f64 v[45:46], v[51:52], -0.5
	v_fma_f64 v[47:48], v[16:17], -0.5, v[18:19]
	v_fma_f64 v[49:50], v[16:17], s[6:7], v[45:46]
	v_add_f64 v[16:17], v[53:54], v[47:48]
	v_add_f64 v[18:19], v[55:56], v[49:50]
	v_add_f64 v[45:46], v[53:54], -v[47:48]
	v_add_f64 v[47:48], v[55:56], -v[49:50]
	buffer_load_dword v49, off, s[20:23], 0 offset:1096 ; 4-byte Folded Reload
	s_waitcnt vmcnt(0)
	ds_write_b128 v49, v[0:3]
	ds_write_b128 v49, v[8:11] offset:576
	ds_write_b128 v49, v[16:19] offset:1152
	ds_write_b128 v49, v[4:7] offset:1728
	ds_write_b128 v49, v[12:15] offset:2304
	ds_write_b128 v49, v[45:48] offset:2880
	v_add_f64 v[0:1], v[28:29], v[36:37]
	v_add_f64 v[2:3], v[22:23], v[30:31]
	v_fma_f64 v[16:17], v[0:1], -0.5, v[20:21]
	v_add_f64 v[0:1], v[30:31], v[38:39]
	v_add_f64 v[6:7], v[2:3], v[38:39]
	v_fma_f64 v[18:19], v[0:1], -0.5, v[22:23]
	v_add_f64 v[0:1], v[20:21], v[28:29]
	v_add_f64 v[20:21], v[34:35], -v[42:43]
	v_add_f64 v[28:29], v[28:29], -v[36:37]
	v_add_f64 v[4:5], v[0:1], v[36:37]
	v_add_f64 v[0:1], v[24:25], v[34:35]
	;; [unrolled: 1-line block ×6, first 2 shown]
	v_add_f64 v[4:5], v[4:5], -v[8:9]
	v_add_f64 v[8:9], v[34:35], v[42:43]
	v_fma_f64 v[34:35], v[28:29], s[6:7], v[18:19]
	v_add_f64 v[2:3], v[6:7], v[10:11]
	v_add_f64 v[6:7], v[6:7], -v[10:11]
	v_add_f64 v[10:11], v[32:33], v[40:41]
	v_fma_f64 v[24:25], v[8:9], -0.5, v[24:25]
	v_fma_f64 v[22:23], v[10:11], -0.5, v[26:27]
	v_add_f64 v[26:27], v[30:31], -v[38:39]
	v_add_f64 v[30:31], v[32:33], -v[40:41]
	v_fma_f64 v[8:9], v[20:21], s[6:7], v[22:23]
	v_fma_f64 v[20:21], v[20:21], s[8:9], v[22:23]
	;; [unrolled: 1-line block ×4, first 2 shown]
	v_mul_f64 v[10:11], v[8:9], s[8:9]
	v_mul_f64 v[8:9], v[8:9], 0.5
	v_fma_f64 v[14:15], v[12:13], 0.5, v[10:11]
	v_fma_f64 v[32:33], v[12:13], s[6:7], v[8:9]
	v_fma_f64 v[12:13], v[26:27], s[8:9], v[16:17]
	;; [unrolled: 1-line block ×4, first 2 shown]
	v_mul_f64 v[18:19], v[20:21], s[8:9]
	v_mul_f64 v[20:21], v[20:21], -0.5
	s_mul_i32 s8, s1, 0xffff5500
	v_add_f64 v[10:11], v[34:35], v[32:33]
	v_add_f64 v[8:9], v[12:13], v[14:15]
	v_add_f64 v[12:13], v[12:13], -v[14:15]
	v_add_f64 v[14:15], v[34:35], -v[32:33]
	v_fma_f64 v[24:25], v[16:17], -0.5, v[18:19]
	v_fma_f64 v[28:29], v[16:17], s[6:7], v[20:21]
	s_mul_hi_u32 s6, s0, 0x2400
	s_mul_i32 s7, s0, 0xffff5500
	v_add_f64 v[16:17], v[22:23], v[24:25]
	v_add_f64 v[20:21], v[22:23], -v[24:25]
	buffer_load_dword v24, off, s[20:23], 0 offset:1092 ; 4-byte Folded Reload
	v_add_f64 v[18:19], v[26:27], v[28:29]
	v_add_f64 v[22:23], v[26:27], -v[28:29]
	s_waitcnt vmcnt(0)
	ds_write_b128 v24, v[0:3]
	ds_write_b128 v24, v[8:11] offset:576
	ds_write_b128 v24, v[16:19] offset:1152
	;; [unrolled: 1-line block ×5, first 2 shown]
	s_waitcnt lgkmcnt(0)
	s_barrier
	buffer_gl0_inv
	ds_read_b128 v[0:3], v44 offset:13824
	s_clause 0x3
	buffer_load_dword v6, off, s[20:23], 0 offset:1076
	buffer_load_dword v7, off, s[20:23], 0 offset:1080
	;; [unrolled: 1-line block ×4, first 2 shown]
	s_waitcnt vmcnt(0) lgkmcnt(0)
	v_mul_f64 v[4:5], v[8:9], v[2:3]
	v_fma_f64 v[50:51], v[6:7], v[0:1], v[4:5]
	v_mul_f64 v[0:1], v[8:9], v[0:1]
	v_fma_f64 v[56:57], v[6:7], v[2:3], -v[0:1]
	ds_read_b128 v[0:3], v44 offset:27648
	s_waitcnt lgkmcnt(0)
	v_mul_f64 v[4:5], v[254:255], v[2:3]
	v_fma_f64 v[4:5], v[252:253], v[0:1], v[4:5]
	v_mul_f64 v[0:1], v[254:255], v[0:1]
	v_fma_f64 v[6:7], v[252:253], v[2:3], -v[0:1]
	ds_read_b128 v[0:3], v44 offset:41472
	s_waitcnt lgkmcnt(0)
	v_mul_f64 v[8:9], v[250:251], v[2:3]
	v_fma_f64 v[64:65], v[248:249], v[0:1], v[8:9]
	v_mul_f64 v[0:1], v[250:251], v[0:1]
	v_add_f64 v[150:151], v[50:51], -v[64:65]
	v_fma_f64 v[66:67], v[248:249], v[2:3], -v[0:1]
	ds_read_b128 v[0:3], v44 offset:16128
	s_waitcnt lgkmcnt(0)
	v_mul_f64 v[8:9], v[246:247], v[2:3]
	v_add_f64 v[148:149], v[56:57], -v[66:67]
	v_fma_f64 v[58:59], v[244:245], v[0:1], v[8:9]
	v_mul_f64 v[0:1], v[246:247], v[0:1]
	v_fma_f64 v[62:63], v[244:245], v[2:3], -v[0:1]
	ds_read_b128 v[0:3], v44 offset:29952
	s_waitcnt lgkmcnt(0)
	v_mul_f64 v[8:9], v[142:143], v[2:3]
	v_fma_f64 v[136:137], v[140:141], v[0:1], v[8:9]
	v_mul_f64 v[0:1], v[142:143], v[0:1]
	v_fma_f64 v[142:143], v[140:141], v[2:3], -v[0:1]
	ds_read_b128 v[0:3], v44 offset:43776
	s_waitcnt lgkmcnt(0)
	v_mul_f64 v[8:9], v[242:243], v[2:3]
	;; [unrolled: 6-line block ×14, first 2 shown]
	v_fma_f64 v[24:25], v[192:193], v[0:1], v[24:25]
	v_mul_f64 v[0:1], v[194:195], v[0:1]
	v_fma_f64 v[26:27], v[192:193], v[2:3], -v[0:1]
	ds_read_b128 v[0:3], v44
	ds_read_b128 v[64:67], v44 offset:11520
	ds_read_b128 v[68:71], v44 offset:2304
	;; [unrolled: 1-line block ×5, first 2 shown]
	s_waitcnt lgkmcnt(0)
	s_barrier
	buffer_gl0_inv
	v_add_f64 v[84:85], v[70:71], -v[142:143]
	v_add_f64 v[48:49], v[72:73], -v[48:49]
	;; [unrolled: 1-line block ×4, first 2 shown]
	v_fma_f64 v[138:139], v[0:1], 2.0, -v[4:5]
	v_fma_f64 v[140:141], v[2:3], 2.0, -v[6:7]
	v_add_f64 v[0:1], v[4:5], v[148:149]
	v_add_f64 v[2:3], v[6:7], -v[150:151]
	v_fma_f64 v[4:5], v[4:5], 2.0, -v[0:1]
	v_fma_f64 v[6:7], v[6:7], 2.0, -v[2:3]
	ds_write_b128 v44, v[0:3] offset:10368
	ds_write_b128 v44, v[4:7] offset:3456
	v_fma_f64 v[0:1], v[50:51], 2.0, -v[150:151]
	v_fma_f64 v[2:3], v[56:57], 2.0, -v[148:149]
	v_add_f64 v[50:51], v[68:69], -v[136:137]
	v_add_f64 v[56:57], v[58:59], -v[144:145]
	;; [unrolled: 1-line block ×4, first 2 shown]
	v_fma_f64 v[4:5], v[138:139], 2.0, -v[0:1]
	v_fma_f64 v[6:7], v[140:141], 2.0, -v[2:3]
	ds_write_b128 v44, v[0:3] offset:6912
	ds_write_b128 v44, v[4:7]
	buffer_load_dword v45, off, s[20:23], 0 offset:1104 ; 4-byte Folded Reload
	v_fma_f64 v[4:5], v[68:69], 2.0, -v[50:51]
	v_add_f64 v[68:69], v[62:63], -v[146:147]
	v_fma_f64 v[6:7], v[70:71], 2.0, -v[84:85]
	v_fma_f64 v[0:1], v[58:59], 2.0, -v[56:57]
	;; [unrolled: 1-line block ×3, first 2 shown]
	v_add_f64 v[0:1], v[4:5], -v[0:1]
	v_add_f64 v[2:3], v[6:7], -v[2:3]
	v_fma_f64 v[4:5], v[4:5], 2.0, -v[0:1]
	v_fma_f64 v[6:7], v[6:7], 2.0, -v[2:3]
	s_waitcnt vmcnt(0)
	ds_write_b128 v45, v[4:7]
	v_add_f64 v[4:5], v[50:51], v[68:69]
	v_add_f64 v[6:7], v[84:85], -v[56:57]
	v_fma_f64 v[56:57], v[50:51], 2.0, -v[4:5]
	v_fma_f64 v[58:59], v[84:85], 2.0, -v[6:7]
	v_add_f64 v[50:51], v[74:75], -v[52:53]
	v_add_f64 v[52:53], v[28:29], -v[54:55]
	;; [unrolled: 1-line block ×3, first 2 shown]
	ds_write_b128 v45, v[56:59] offset:3456
	ds_write_b128 v45, v[0:3] offset:6912
	;; [unrolled: 1-line block ×3, first 2 shown]
	v_fma_f64 v[4:5], v[72:73], 2.0, -v[48:49]
	v_fma_f64 v[6:7], v[74:75], 2.0, -v[50:51]
	;; [unrolled: 1-line block ×4, first 2 shown]
	v_add_f64 v[0:1], v[4:5], -v[0:1]
	v_add_f64 v[2:3], v[6:7], -v[2:3]
	v_fma_f64 v[4:5], v[4:5], 2.0, -v[0:1]
	v_fma_f64 v[6:7], v[6:7], 2.0, -v[2:3]
	ds_write_b128 v44, v[4:7] offset:14976
	v_add_f64 v[4:5], v[48:49], v[54:55]
	v_add_f64 v[6:7], v[50:51], -v[52:53]
	v_fma_f64 v[28:29], v[48:49], 2.0, -v[4:5]
	v_fma_f64 v[30:31], v[50:51], 2.0, -v[6:7]
	ds_write_b128 v44, v[28:31] offset:18432
	ds_write_b128 v44, v[0:3] offset:21888
	ds_write_b128 v44, v[4:7] offset:25344
	buffer_load_dword v45, off, s[20:23], 0 offset:1108 ; 4-byte Folded Reload
	v_add_f64 v[28:29], v[76:77], -v[40:41]
	v_add_f64 v[30:31], v[78:79], -v[42:43]
	;; [unrolled: 1-line block ×4, first 2 shown]
	v_fma_f64 v[4:5], v[76:77], 2.0, -v[28:29]
	v_fma_f64 v[6:7], v[78:79], 2.0, -v[30:31]
	;; [unrolled: 1-line block ×4, first 2 shown]
	v_add_f64 v[0:1], v[4:5], -v[0:1]
	v_add_f64 v[2:3], v[6:7], -v[2:3]
	v_fma_f64 v[4:5], v[4:5], 2.0, -v[0:1]
	v_fma_f64 v[6:7], v[6:7], 2.0, -v[2:3]
	s_waitcnt vmcnt(0)
	ds_write_b128 v45, v[4:7] offset:27648
	v_add_f64 v[4:5], v[28:29], v[42:43]
	v_add_f64 v[6:7], v[30:31], -v[40:41]
	v_fma_f64 v[16:17], v[28:29], 2.0, -v[4:5]
	v_fma_f64 v[18:19], v[30:31], 2.0, -v[6:7]
	ds_write_b128 v45, v[16:19] offset:31104
	ds_write_b128 v45, v[0:3] offset:34560
	;; [unrolled: 1-line block ×3, first 2 shown]
	v_add_f64 v[16:17], v[80:81], -v[32:33]
	buffer_load_dword v32, off, s[20:23], 0 offset:1112 ; 4-byte Folded Reload
	v_add_f64 v[18:19], v[82:83], -v[34:35]
	v_add_f64 v[28:29], v[12:13], -v[36:37]
	;; [unrolled: 1-line block ×3, first 2 shown]
	v_fma_f64 v[4:5], v[80:81], 2.0, -v[16:17]
	v_fma_f64 v[6:7], v[82:83], 2.0, -v[18:19]
	;; [unrolled: 1-line block ×4, first 2 shown]
	v_add_f64 v[0:1], v[4:5], -v[0:1]
	v_add_f64 v[2:3], v[6:7], -v[2:3]
	v_fma_f64 v[4:5], v[4:5], 2.0, -v[0:1]
	v_fma_f64 v[6:7], v[6:7], 2.0, -v[2:3]
	s_waitcnt vmcnt(0)
	ds_write_b128 v32, v[4:7]
	v_add_f64 v[4:5], v[16:17], v[30:31]
	v_add_f64 v[6:7], v[18:19], -v[28:29]
	v_fma_f64 v[12:13], v[16:17], 2.0, -v[4:5]
	v_fma_f64 v[14:15], v[18:19], 2.0, -v[6:7]
	ds_write_b128 v32, v[12:15] offset:3456
	ds_write_b128 v32, v[0:3] offset:6912
	;; [unrolled: 1-line block ×3, first 2 shown]
	v_add_f64 v[12:13], v[64:65], -v[20:21]
	buffer_load_dword v20, off, s[20:23], 0 offset:1116 ; 4-byte Folded Reload
	v_add_f64 v[14:15], v[66:67], -v[22:23]
	v_add_f64 v[16:17], v[8:9], -v[24:25]
	;; [unrolled: 1-line block ×3, first 2 shown]
	v_fma_f64 v[4:5], v[64:65], 2.0, -v[12:13]
	v_fma_f64 v[6:7], v[66:67], 2.0, -v[14:15]
	;; [unrolled: 1-line block ×4, first 2 shown]
	v_add_f64 v[0:1], v[4:5], -v[0:1]
	v_add_f64 v[2:3], v[6:7], -v[2:3]
	v_fma_f64 v[4:5], v[4:5], 2.0, -v[0:1]
	v_fma_f64 v[6:7], v[6:7], 2.0, -v[2:3]
	s_waitcnt vmcnt(0)
	ds_write_b128 v20, v[4:7] offset:41472
	v_add_f64 v[4:5], v[12:13], v[18:19]
	v_add_f64 v[6:7], v[14:15], -v[16:17]
	v_fma_f64 v[8:9], v[12:13], 2.0, -v[4:5]
	v_fma_f64 v[10:11], v[14:15], 2.0, -v[6:7]
	ds_write_b128 v20, v[8:11] offset:44928
	ds_write_b128 v20, v[0:3] offset:48384
	;; [unrolled: 1-line block ×3, first 2 shown]
	s_waitcnt lgkmcnt(0)
	s_barrier
	buffer_gl0_inv
	ds_read_b128 v[0:3], v44 offset:13824
	s_waitcnt lgkmcnt(0)
	v_mul_f64 v[4:5], v[190:191], v[2:3]
	v_fma_f64 v[28:29], v[188:189], v[0:1], v[4:5]
	v_mul_f64 v[0:1], v[190:191], v[0:1]
	v_fma_f64 v[30:31], v[188:189], v[2:3], -v[0:1]
	ds_read_b128 v[0:3], v44 offset:27648
	s_waitcnt lgkmcnt(0)
	v_mul_f64 v[4:5], v[186:187], v[2:3]
	v_fma_f64 v[4:5], v[184:185], v[0:1], v[4:5]
	v_mul_f64 v[0:1], v[186:187], v[0:1]
	v_fma_f64 v[6:7], v[184:185], v[2:3], -v[0:1]
	ds_read_b128 v[0:3], v44 offset:41472
	s_waitcnt lgkmcnt(0)
	v_mul_f64 v[8:9], v[182:183], v[2:3]
	v_fma_f64 v[8:9], v[180:181], v[0:1], v[8:9]
	v_mul_f64 v[0:1], v[182:183], v[0:1]
	v_add_f64 v[83:84], v[28:29], -v[8:9]
	v_fma_f64 v[10:11], v[180:181], v[2:3], -v[0:1]
	ds_read_b128 v[0:3], v44 offset:16128
	s_waitcnt lgkmcnt(0)
	v_mul_f64 v[12:13], v[178:179], v[2:3]
	v_add_f64 v[81:82], v[30:31], -v[10:11]
	v_fma_f64 v[32:33], v[176:177], v[0:1], v[12:13]
	v_mul_f64 v[0:1], v[178:179], v[0:1]
	v_fma_f64 v[34:35], v[176:177], v[2:3], -v[0:1]
	ds_read_b128 v[0:3], v44 offset:29952
	s_waitcnt lgkmcnt(0)
	v_mul_f64 v[12:13], v[174:175], v[2:3]
	v_fma_f64 v[12:13], v[172:173], v[0:1], v[12:13]
	v_mul_f64 v[0:1], v[174:175], v[0:1]
	v_fma_f64 v[14:15], v[172:173], v[2:3], -v[0:1]
	ds_read_b128 v[0:3], v44 offset:43776
	s_waitcnt lgkmcnt(0)
	v_mul_f64 v[16:17], v[170:171], v[2:3]
	;; [unrolled: 6-line block ×8, first 2 shown]
	v_fma_f64 v[49:50], v[110:111], v[0:1], v[49:50]
	v_mul_f64 v[0:1], v[112:113], v[0:1]
	v_add_f64 v[49:50], v[40:41], -v[49:50]
	v_fma_f64 v[51:52], v[110:111], v[2:3], -v[0:1]
	ds_read_b128 v[0:3], v44 offset:23040
	s_waitcnt lgkmcnt(0)
	v_mul_f64 v[53:54], v[108:109], v[2:3]
	v_add_f64 v[51:52], v[42:43], -v[51:52]
	v_fma_f64 v[53:54], v[106:107], v[0:1], v[53:54]
	v_mul_f64 v[0:1], v[108:109], v[0:1]
	v_fma_f64 v[55:56], v[106:107], v[2:3], -v[0:1]
	ds_read_b128 v[0:3], v44 offset:36864
	s_waitcnt lgkmcnt(0)
	v_mul_f64 v[57:58], v[104:105], v[2:3]
	v_fma_f64 v[57:58], v[102:103], v[0:1], v[57:58]
	v_mul_f64 v[0:1], v[104:105], v[0:1]
	v_fma_f64 v[59:60], v[102:103], v[2:3], -v[0:1]
	ds_read_b128 v[0:3], v44 offset:50688
	s_waitcnt lgkmcnt(0)
	v_mul_f64 v[61:62], v[100:101], v[2:3]
	v_fma_f64 v[61:62], v[98:99], v[0:1], v[61:62]
	v_mul_f64 v[0:1], v[100:101], v[0:1]
	v_add_f64 v[61:62], v[53:54], -v[61:62]
	v_fma_f64 v[63:64], v[98:99], v[2:3], -v[0:1]
	ds_read_b128 v[0:3], v44 offset:25344
	v_add_f64 v[99:100], v[36:37], -v[24:25]
	s_waitcnt lgkmcnt(0)
	v_mul_f64 v[65:66], v[96:97], v[2:3]
	v_add_f64 v[63:64], v[55:56], -v[63:64]
	v_fma_f64 v[65:66], v[94:95], v[0:1], v[65:66]
	v_mul_f64 v[0:1], v[96:97], v[0:1]
	v_add_f64 v[97:98], v[38:39], -v[26:27]
	v_fma_f64 v[67:68], v[94:95], v[2:3], -v[0:1]
	ds_read_b128 v[0:3], v44 offset:39168
	s_waitcnt lgkmcnt(0)
	v_mul_f64 v[69:70], v[92:93], v[2:3]
	v_fma_f64 v[69:70], v[90:91], v[0:1], v[69:70]
	v_mul_f64 v[0:1], v[92:93], v[0:1]
	v_fma_f64 v[71:72], v[90:91], v[2:3], -v[0:1]
	ds_read_b128 v[0:3], v44 offset:52992
	v_add_f64 v[91:92], v[32:33], -v[16:17]
	s_waitcnt lgkmcnt(0)
	v_mul_f64 v[73:74], v[88:89], v[2:3]
	v_fma_f64 v[73:74], v[86:87], v[0:1], v[73:74]
	v_mul_f64 v[0:1], v[88:89], v[0:1]
	v_add_f64 v[89:90], v[34:35], -v[18:19]
	v_add_f64 v[73:74], v[65:66], -v[73:74]
	v_fma_f64 v[75:76], v[86:87], v[2:3], -v[0:1]
	ds_read_b128 v[0:3], v44
	s_waitcnt lgkmcnt(0)
	v_add_f64 v[4:5], v[0:1], -v[4:5]
	v_add_f64 v[6:7], v[2:3], -v[6:7]
	;; [unrolled: 1-line block ×3, first 2 shown]
	v_fma_f64 v[77:78], v[0:1], 2.0, -v[4:5]
	v_fma_f64 v[79:80], v[2:3], 2.0, -v[6:7]
	v_add_f64 v[0:1], v[4:5], v[81:82]
	v_add_f64 v[2:3], v[6:7], -v[83:84]
	v_fma_f64 v[4:5], v[4:5], 2.0, -v[0:1]
	v_fma_f64 v[6:7], v[6:7], 2.0, -v[2:3]
	ds_write_b128 v44, v[0:3] offset:41472
	ds_read_b128 v[0:3], v44 offset:2304
	s_waitcnt lgkmcnt(0)
	v_add_f64 v[8:9], v[0:1], -v[12:13]
	v_add_f64 v[10:11], v[2:3], -v[14:15]
	v_fma_f64 v[85:86], v[0:1], 2.0, -v[8:9]
	v_fma_f64 v[87:88], v[2:3], 2.0, -v[10:11]
	v_add_f64 v[0:1], v[8:9], v[89:90]
	v_add_f64 v[2:3], v[10:11], -v[91:92]
	v_fma_f64 v[8:9], v[8:9], 2.0, -v[0:1]
	v_fma_f64 v[10:11], v[10:11], 2.0, -v[2:3]
	ds_write_b128 v44, v[0:3] offset:43776
	ds_read_b128 v[0:3], v44 offset:4608
	s_waitcnt lgkmcnt(0)
	v_add_f64 v[12:13], v[0:1], -v[20:21]
	v_add_f64 v[14:15], v[2:3], -v[22:23]
	;; [unrolled: 11-line block ×5, first 2 shown]
	v_fma_f64 v[69:70], v[0:1], 2.0, -v[24:25]
	v_fma_f64 v[71:72], v[2:3], 2.0, -v[26:27]
	v_add_f64 v[0:1], v[24:25], v[75:76]
	v_add_f64 v[2:3], v[26:27], -v[73:74]
	ds_write_b128 v44, v[0:3] offset:52992
	ds_write_b128 v44, v[4:7] offset:13824
	v_fma_f64 v[24:25], v[24:25], 2.0, -v[0:1]
	v_fma_f64 v[26:27], v[26:27], 2.0, -v[2:3]
	v_fma_f64 v[0:1], v[28:29], 2.0, -v[83:84]
	v_fma_f64 v[2:3], v[30:31], 2.0, -v[81:82]
	v_add_f64 v[0:1], v[77:78], -v[0:1]
	v_add_f64 v[2:3], v[79:80], -v[2:3]
	ds_write_b128 v44, v[0:3] offset:27648
	ds_write_b128 v44, v[8:11] offset:16128
	v_fma_f64 v[4:5], v[77:78], 2.0, -v[0:1]
	v_fma_f64 v[6:7], v[79:80], 2.0, -v[2:3]
	v_fma_f64 v[0:1], v[32:33], 2.0, -v[91:92]
	v_fma_f64 v[2:3], v[34:35], 2.0, -v[89:90]
	v_add_f64 v[0:1], v[85:86], -v[0:1]
	;; [unrolled: 8-line block ×6, first 2 shown]
	v_add_f64 v[2:3], v[71:72], -v[2:3]
	v_fma_f64 v[24:25], v[69:70], 2.0, -v[0:1]
	v_fma_f64 v[26:27], v[71:72], 2.0, -v[2:3]
	ds_write_b128 v44, v[0:3] offset:39168
	ds_write_b128 v44, v[4:7]
	ds_write_b128 v44, v[8:11] offset:2304
	ds_write_b128 v44, v[12:15] offset:4608
	;; [unrolled: 1-line block ×5, first 2 shown]
	s_waitcnt lgkmcnt(0)
	s_barrier
	buffer_gl0_inv
	ds_read_b128 v[0:3], v44
	ds_read_b128 v[4:7], v44 offset:9216
	s_clause 0x3
	buffer_load_dword v16, off, s[20:23], 0 offset:300
	buffer_load_dword v17, off, s[20:23], 0 offset:304
	buffer_load_dword v18, off, s[20:23], 0 offset:308
	buffer_load_dword v19, off, s[20:23], 0 offset:312
	s_waitcnt vmcnt(0) lgkmcnt(1)
	v_mul_f64 v[8:9], v[18:19], v[2:3]
	v_mul_f64 v[10:11], v[18:19], v[0:1]
	s_clause 0x3
	buffer_load_dword v18, off, s[20:23], 0 offset:348
	buffer_load_dword v19, off, s[20:23], 0 offset:352
	buffer_load_dword v20, off, s[20:23], 0 offset:356
	buffer_load_dword v21, off, s[20:23], 0 offset:360
	v_fma_f64 v[52:53], v[16:17], v[0:1], v[8:9]
	v_fma_f64 v[54:55], v[16:17], v[2:3], -v[10:11]
	ds_read_b128 v[0:3], v44 offset:18432
	ds_read_b128 v[8:11], v44 offset:27648
	s_waitcnt vmcnt(0) lgkmcnt(2)
	v_mul_f64 v[12:13], v[20:21], v[6:7]
	v_mul_f64 v[14:15], v[20:21], v[4:5]
	v_fma_f64 v[48:49], v[18:19], v[4:5], v[12:13]
	v_fma_f64 v[50:51], v[18:19], v[6:7], -v[14:15]
	s_clause 0x3
	buffer_load_dword v16, off, s[20:23], 0 offset:316
	buffer_load_dword v17, off, s[20:23], 0 offset:320
	buffer_load_dword v18, off, s[20:23], 0 offset:324
	buffer_load_dword v19, off, s[20:23], 0 offset:328
	s_waitcnt vmcnt(0) lgkmcnt(1)
	v_mul_f64 v[4:5], v[18:19], v[2:3]
	v_mul_f64 v[6:7], v[18:19], v[0:1]
	s_clause 0x3
	buffer_load_dword v18, off, s[20:23], 0 offset:332
	buffer_load_dword v19, off, s[20:23], 0 offset:336
	buffer_load_dword v20, off, s[20:23], 0 offset:340
	buffer_load_dword v21, off, s[20:23], 0 offset:344
	v_fma_f64 v[66:67], v[16:17], v[0:1], v[4:5]
	v_fma_f64 v[46:47], v[16:17], v[2:3], -v[6:7]
	ds_read_b128 v[0:3], v44 offset:36864
	ds_read_b128 v[4:7], v44 offset:46080
	s_waitcnt vmcnt(0) lgkmcnt(2)
	v_mul_f64 v[12:13], v[20:21], v[10:11]
	v_mul_f64 v[14:15], v[20:21], v[8:9]
	v_fma_f64 v[40:41], v[18:19], v[8:9], v[12:13]
	v_fma_f64 v[42:43], v[18:19], v[10:11], -v[14:15]
	;; [unrolled: 22-line block ×3, first 2 shown]
	s_clause 0x7
	buffer_load_dword v20, off, s[20:23], 0 offset:252
	buffer_load_dword v21, off, s[20:23], 0 offset:256
	;; [unrolled: 1-line block ×8, first 2 shown]
	s_waitcnt vmcnt(4) lgkmcnt(1)
	v_mul_f64 v[4:5], v[22:23], v[2:3]
	v_mul_f64 v[6:7], v[22:23], v[0:1]
	s_waitcnt vmcnt(0) lgkmcnt(0)
	v_mul_f64 v[12:13], v[30:31], v[10:11]
	v_mul_f64 v[14:15], v[30:31], v[8:9]
	v_fma_f64 v[32:33], v[20:21], v[0:1], v[4:5]
	v_fma_f64 v[34:35], v[20:21], v[2:3], -v[6:7]
	ds_read_b128 v[0:3], v44 offset:20736
	ds_read_b128 v[4:7], v44 offset:29952
	v_fma_f64 v[8:9], v[28:29], v[8:9], v[12:13]
	v_fma_f64 v[10:11], v[28:29], v[10:11], -v[14:15]
	s_clause 0x7
	buffer_load_dword v28, off, s[20:23], 0 offset:220
	buffer_load_dword v29, off, s[20:23], 0 offset:224
	;; [unrolled: 1-line block ×8, first 2 shown]
	s_waitcnt vmcnt(4) lgkmcnt(1)
	v_mul_f64 v[12:13], v[30:31], v[2:3]
	v_mul_f64 v[14:15], v[30:31], v[0:1]
	s_waitcnt vmcnt(0) lgkmcnt(0)
	v_mul_f64 v[20:21], v[58:59], v[6:7]
	v_mul_f64 v[22:23], v[58:59], v[4:5]
	v_fma_f64 v[12:13], v[28:29], v[0:1], v[12:13]
	v_fma_f64 v[14:15], v[28:29], v[2:3], -v[14:15]
	ds_read_b128 v[0:3], v44 offset:39168
	ds_read_b128 v[36:39], v44 offset:48384
	s_clause 0x7
	buffer_load_dword v68, off, s[20:23], 0 offset:204
	buffer_load_dword v69, off, s[20:23], 0 offset:208
	;; [unrolled: 1-line block ×8, first 2 shown]
	v_fma_f64 v[20:21], v[56:57], v[4:5], v[20:21]
	v_fma_f64 v[22:23], v[56:57], v[6:7], -v[22:23]
	s_waitcnt vmcnt(4) lgkmcnt(1)
	v_mul_f64 v[4:5], v[70:71], v[2:3]
	v_mul_f64 v[6:7], v[70:71], v[0:1]
	s_waitcnt vmcnt(0) lgkmcnt(0)
	v_mul_f64 v[56:57], v[62:63], v[38:39]
	v_mul_f64 v[58:59], v[62:63], v[36:37]
	v_fma_f64 v[28:29], v[68:69], v[0:1], v[4:5]
	v_fma_f64 v[30:31], v[68:69], v[2:3], -v[6:7]
	ds_read_b128 v[4:7], v44 offset:4608
	ds_read_b128 v[0:3], v44 offset:13824
	s_clause 0xa
	buffer_load_dword v62, off, s[20:23], 0 offset:364
	buffer_load_dword v63, off, s[20:23], 0 offset:368
	;; [unrolled: 1-line block ×4, first 2 shown]
	buffer_load_dword v68, off, s[20:23], 0
	buffer_load_dword v69, off, s[20:23], 0 offset:4
	buffer_load_dword v69, off, s[20:23], 0 offset:156
	buffer_load_dword v70, off, s[20:23], 0 offset:160
	buffer_load_dword v71, off, s[20:23], 0 offset:164
	buffer_load_dword v72, off, s[20:23], 0 offset:168
	buffer_load_dword v77, off, s[20:23], 0 offset:396
	v_fma_f64 v[36:37], v[60:61], v[36:37], v[56:57]
	v_fma_f64 v[38:39], v[60:61], v[38:39], -v[58:59]
	s_waitcnt vmcnt(7) lgkmcnt(1)
	v_mul_f64 v[56:57], v[64:65], v[6:7]
	v_mul_f64 v[58:59], v[64:65], v[4:5]
	s_waitcnt vmcnt(1) lgkmcnt(0)
	v_mul_f64 v[60:61], v[71:72], v[2:3]
	v_mad_u64_u32 v[64:65], null, s2, v68, 0
	v_mov_b32_e32 v45, v65
	v_fma_f64 v[56:57], v[62:63], v[4:5], v[56:57]
	v_fma_f64 v[58:59], v[62:63], v[6:7], -v[58:59]
	v_mul_f64 v[62:63], v[71:72], v[0:1]
	v_mov_b32_e32 v71, v70
	v_mov_b32_e32 v70, v69
	v_mad_u64_u32 v[68:69], null, s3, v68, v[45:46]
	s_waitcnt vmcnt(0)
	v_mad_u64_u32 v[72:73], null, s0, v77, 0
	ds_read_b128 v[4:7], v44 offset:23040
	v_fma_f64 v[60:61], v[70:71], v[0:1], v[60:61]
	s_load_dwordx2 s[2:3], s[4:5], 0x38
	s_mul_i32 s5, s1, 0x2400
	v_mov_b32_e32 v65, v68
	s_mul_i32 s4, s0, 0x2400
	v_mov_b32_e32 v45, v73
	s_add_i32 s5, s6, s5
	s_mul_hi_u32 s6, s0, 0xffff5500
	v_lshlrev_b64 v[64:65], 4, v[64:65]
	s_sub_i32 s6, s6, s0
	s_add_i32 s6, s6, s8
	v_fma_f64 v[62:63], v[70:71], v[2:3], -v[62:63]
	ds_read_b128 v[68:71], v44 offset:32256
	s_clause 0x3
	buffer_load_dword v73, off, s[20:23], 0 offset:172
	buffer_load_dword v74, off, s[20:23], 0 offset:176
	;; [unrolled: 1-line block ×4, first 2 shown]
	s_waitcnt lgkmcnt(0)
	v_add_co_u32 v86, vcc_lo, s2, v64
	v_add_co_ci_u32_e32 v88, vcc_lo, s3, v65, vcc_lo
	s_mov_b32 s2, 0xbda12f68
	s_mov_b32 s3, 0x3f32f684
	v_mul_f64 v[52:53], v[52:53], s[2:3]
	v_mul_f64 v[54:55], v[54:55], s[2:3]
	;; [unrolled: 1-line block ×22, first 2 shown]
	s_waitcnt vmcnt(0)
	v_mul_f64 v[0:1], v[75:76], v[6:7]
	v_mul_f64 v[2:3], v[75:76], v[4:5]
	v_mov_b32_e32 v76, v74
	v_mov_b32_e32 v75, v73
	v_mad_u64_u32 v[73:74], null, s1, v77, v[45:46]
	s_clause 0x3
	buffer_load_dword v77, off, s[20:23], 0 offset:140
	buffer_load_dword v78, off, s[20:23], 0 offset:144
	;; [unrolled: 1-line block ×4, first 2 shown]
	v_lshlrev_b64 v[72:73], 4, v[72:73]
	v_add_co_u32 v72, vcc_lo, v86, v72
	v_add_co_ci_u32_e32 v73, vcc_lo, v88, v73, vcc_lo
	v_fma_f64 v[0:1], v[75:76], v[4:5], v[0:1]
	v_fma_f64 v[2:3], v[75:76], v[6:7], -v[2:3]
	v_add_co_u32 v74, vcc_lo, v72, s4
	v_add_co_ci_u32_e32 v75, vcc_lo, s5, v73, vcc_lo
	global_store_dwordx4 v[72:73], v[52:55], off
	v_add_co_u32 v76, vcc_lo, v74, s4
	v_mul_f64 v[52:53], v[66:67], s[2:3]
	v_mul_f64 v[54:55], v[46:47], s[2:3]
	global_store_dwordx4 v[74:75], v[48:51], off
	v_mul_f64 v[0:1], v[0:1], s[2:3]
	v_mul_f64 v[2:3], v[2:3], s[2:3]
	s_waitcnt vmcnt(0)
	v_mul_f64 v[64:65], v[79:80], v[70:71]
	v_mul_f64 v[4:5], v[79:80], v[68:69]
	v_mov_b32_e32 v81, v78
	v_mov_b32_e32 v80, v77
	v_add_co_ci_u32_e32 v77, vcc_lo, s5, v75, vcc_lo
	v_add_co_u32 v78, vcc_lo, v76, s4
	v_add_co_ci_u32_e32 v79, vcc_lo, s5, v77, vcc_lo
	global_store_dwordx4 v[76:77], v[52:55], off
	ds_read_b128 v[49:52], v44 offset:52992
	v_mul_f64 v[53:54], v[56:57], s[2:3]
	global_store_dwordx4 v[78:79], v[40:43], off
	ds_read_b128 v[40:43], v44 offset:50688
	v_mul_f64 v[55:56], v[58:59], s[2:3]
	v_mul_f64 v[57:58], v[60:61], s[2:3]
	v_mul_f64 v[59:60], v[62:63], s[2:3]
	v_fma_f64 v[6:7], v[80:81], v[68:69], v[64:65]
	v_fma_f64 v[4:5], v[80:81], v[70:71], -v[4:5]
	buffer_load_dword v80, off, s[20:23], 0 offset:8 ; 4-byte Folded Reload
	v_mad_u64_u32 v[64:65], null, 0x4800, s0, v[78:79]
	v_mov_b32_e32 v45, v65
	v_mad_u64_u32 v[70:71], null, 0x4800, s1, v[45:46]
	v_mov_b32_e32 v65, v70
	s_waitcnt vmcnt(0)
	v_mad_u64_u32 v[68:69], null, s0, v80, 0
	v_mov_b32_e32 v45, v69
	v_mad_u64_u32 v[69:70], null, s1, v80, v[45:46]
	v_add_co_u32 v70, vcc_lo, v64, s7
	v_add_co_ci_u32_e32 v71, vcc_lo, s6, v65, vcc_lo
	ds_read_b128 v[45:48], v44 offset:41472
	v_add_co_u32 v80, vcc_lo, v70, s4
	v_add_co_ci_u32_e32 v81, vcc_lo, s5, v71, vcc_lo
	s_clause 0x3
	buffer_load_dword v90, off, s[20:23], 0 offset:124
	buffer_load_dword v91, off, s[20:23], 0 offset:128
	;; [unrolled: 1-line block ×4, first 2 shown]
	v_add_co_u32 v82, vcc_lo, v80, s4
	v_add_co_ci_u32_e32 v83, vcc_lo, s5, v81, vcc_lo
	v_lshlrev_b64 v[68:69], 4, v[68:69]
	v_add_co_u32 v72, vcc_lo, v82, s4
	v_add_co_ci_u32_e32 v73, vcc_lo, s5, v83, vcc_lo
	v_add_co_u32 v84, vcc_lo, v72, s4
	v_add_co_ci_u32_e32 v85, vcc_lo, s5, v73, vcc_lo
	v_add_co_u32 v66, vcc_lo, v84, s4
	v_add_co_ci_u32_e32 v67, vcc_lo, s5, v85, vcc_lo
	v_add_co_u32 v74, vcc_lo, v66, s7
	v_add_co_ci_u32_e32 v75, vcc_lo, s6, v67, vcc_lo
	v_add_co_u32 v68, vcc_lo, v86, v68
	v_add_co_ci_u32_e32 v69, vcc_lo, v88, v69, vcc_lo
	v_add_co_u32 v86, s0, v74, s4
	v_add_co_ci_u32_e64 v87, s0, s5, v75, s0
	global_store_dwordx4 v[68:69], v[16:19], off
	global_store_dwordx4 v[64:65], v[24:27], off
	;; [unrolled: 1-line block ×3, first 2 shown]
	ds_read_b128 v[16:19], v44 offset:6912
	ds_read_b128 v[24:27], v44 offset:16128
	;; [unrolled: 1-line block ×4, first 2 shown]
	global_store_dwordx4 v[80:81], v[8:11], off
	s_clause 0x3
	buffer_load_dword v8, off, s[20:23], 0 offset:108
	buffer_load_dword v9, off, s[20:23], 0 offset:112
	;; [unrolled: 1-line block ×4, first 2 shown]
	global_store_dwordx4 v[82:83], v[12:15], off
	v_mul_f64 v[12:13], v[6:7], s[2:3]
	v_mul_f64 v[14:15], v[4:5], s[2:3]
	v_add_co_u32 v88, vcc_lo, v86, s4
	v_add_co_ci_u32_e32 v89, vcc_lo, s5, v87, vcc_lo
	s_waitcnt vmcnt(4) lgkmcnt(4)
	v_mul_f64 v[76:77], v[92:93], v[47:48]
	v_mul_f64 v[68:69], v[92:93], v[45:46]
	v_fma_f64 v[4:5], v[90:91], v[45:46], v[76:77]
	v_fma_f64 v[6:7], v[90:91], v[47:48], -v[68:69]
	s_waitcnt vmcnt(2)
	v_mov_b32_e32 v81, v9
	s_waitcnt vmcnt(0)
	v_mul_f64 v[70:71], v[10:11], v[42:43]
	v_mul_f64 v[78:79], v[10:11], v[40:41]
	v_mov_b32_e32 v80, v8
	ds_read_b128 v[8:11], v44 offset:43776
	global_store_dwordx4 v[72:73], v[20:23], off
	global_store_dwordx4 v[84:85], v[28:31], off
	;; [unrolled: 1-line block ×5, first 2 shown]
	s_clause 0xb
	buffer_load_dword v28, off, s[20:23], 0 offset:12
	buffer_load_dword v29, off, s[20:23], 0 offset:16
	;; [unrolled: 1-line block ×12, first 2 shown]
	v_fma_f64 v[38:39], v[80:81], v[40:41], v[70:71]
	v_fma_f64 v[40:41], v[80:81], v[42:43], -v[78:79]
	s_waitcnt vmcnt(8) lgkmcnt(4)
	v_mul_f64 v[20:21], v[30:31], v[18:19]
	s_waitcnt vmcnt(6)
	v_mov_b32_e32 v73, v45
	v_mov_b32_e32 v72, v44
	s_waitcnt vmcnt(0) lgkmcnt(2)
	v_mul_f64 v[42:43], v[55:56], v[34:35]
	v_mul_f64 v[44:45], v[55:56], v[32:33]
	s_clause 0x7
	buffer_load_dword v55, off, s[20:23], 0 offset:60
	buffer_load_dword v56, off, s[20:23], 0 offset:64
	;; [unrolled: 1-line block ×8, first 2 shown]
	v_mov_b32_e32 v70, v54
	v_mul_f64 v[22:23], v[30:31], v[16:17]
	v_mul_f64 v[30:31], v[46:47], v[26:27]
	;; [unrolled: 1-line block ×3, first 2 shown]
	v_mov_b32_e32 v69, v53
	v_mov_b32_e32 v68, v29
	;; [unrolled: 1-line block ×3, first 2 shown]
	v_add_co_u32 v28, vcc_lo, v88, s4
	v_add_co_ci_u32_e32 v29, vcc_lo, s5, v89, vcc_lo
	s_waitcnt vmcnt(6)
	v_mov_b32_e32 v75, v56
	s_waitcnt vmcnt(4) lgkmcnt(1)
	v_mul_f64 v[46:47], v[57:58], v[63:64]
	v_mul_f64 v[53:54], v[57:58], v[61:62]
	v_mov_b32_e32 v74, v55
	s_waitcnt vmcnt(0) lgkmcnt(0)
	v_mul_f64 v[55:56], v[78:79], v[10:11]
	v_mul_f64 v[57:58], v[78:79], v[8:9]
	s_clause 0x3
	buffer_load_dword v78, off, s[20:23], 0 offset:92
	buffer_load_dword v79, off, s[20:23], 0 offset:96
	;; [unrolled: 1-line block ×4, first 2 shown]
	global_store_dwordx4 v[88:89], v[0:3], off
	global_store_dwordx4 v[28:29], v[12:15], off
	v_fma_f64 v[12:13], v[67:68], v[16:17], v[20:21]
	v_fma_f64 v[14:15], v[67:68], v[18:19], -v[22:23]
	v_fma_f64 v[16:17], v[72:73], v[24:25], v[30:31]
	v_fma_f64 v[18:19], v[72:73], v[26:27], -v[36:37]
	v_add_co_u32 v67, vcc_lo, v28, s4
	v_fma_f64 v[20:21], v[69:70], v[32:33], v[42:43]
	v_fma_f64 v[22:23], v[69:70], v[34:35], -v[44:45]
	v_add_co_ci_u32_e32 v68, vcc_lo, s5, v29, vcc_lo
	v_mul_f64 v[0:1], v[4:5], s[2:3]
	v_mul_f64 v[2:3], v[6:7], s[2:3]
	v_add_co_u32 v36, vcc_lo, v67, s4
	v_add_co_ci_u32_e32 v37, vcc_lo, s5, v68, vcc_lo
	v_fma_f64 v[24:25], v[74:75], v[61:62], v[46:47]
	v_fma_f64 v[26:27], v[74:75], v[63:64], -v[53:54]
	v_fma_f64 v[28:29], v[76:77], v[8:9], v[55:56]
	v_fma_f64 v[30:31], v[76:77], v[10:11], -v[57:58]
	v_mul_f64 v[4:5], v[38:39], s[2:3]
	v_add_co_u32 v38, vcc_lo, v36, s7
	v_add_co_ci_u32_e32 v39, vcc_lo, s6, v37, vcc_lo
	v_mul_f64 v[6:7], v[40:41], s[2:3]
	v_add_co_u32 v40, vcc_lo, v38, s4
	v_mul_f64 v[8:9], v[12:13], s[2:3]
	v_mul_f64 v[10:11], v[14:15], s[2:3]
	;; [unrolled: 1-line block ×4, first 2 shown]
	v_add_co_ci_u32_e32 v41, vcc_lo, s5, v39, vcc_lo
	v_mul_f64 v[16:17], v[20:21], s[2:3]
	v_mul_f64 v[18:19], v[22:23], s[2:3]
	global_store_dwordx4 v[67:68], v[0:3], off
	v_mul_f64 v[20:21], v[24:25], s[2:3]
	v_mul_f64 v[22:23], v[26:27], s[2:3]
	;; [unrolled: 1-line block ×4, first 2 shown]
	global_store_dwordx4 v[36:37], v[4:7], off
	global_store_dwordx4 v[38:39], v[8:11], off
	s_waitcnt vmcnt(0)
	v_mul_f64 v[59:60], v[80:81], v[51:52]
	v_mul_f64 v[65:66], v[80:81], v[49:50]
	v_fma_f64 v[32:33], v[78:79], v[49:50], v[59:60]
	v_fma_f64 v[34:35], v[78:79], v[51:52], -v[65:66]
	v_mul_f64 v[28:29], v[32:33], s[2:3]
	v_mul_f64 v[30:31], v[34:35], s[2:3]
	v_add_co_u32 v32, vcc_lo, v40, s4
	v_add_co_ci_u32_e32 v33, vcc_lo, s5, v41, vcc_lo
	v_add_co_u32 v0, vcc_lo, v32, s4
	v_add_co_ci_u32_e32 v1, vcc_lo, s5, v33, vcc_lo
	;; [unrolled: 2-line block ×4, first 2 shown]
	global_store_dwordx4 v[40:41], v[12:15], off
	global_store_dwordx4 v[32:33], v[16:19], off
	global_store_dwordx4 v[0:1], v[20:23], off
	global_store_dwordx4 v[2:3], v[24:27], off
	global_store_dwordx4 v[4:5], v[28:31], off
.LBB0_2:
	s_endpgm
	.section	.rodata,"a",@progbits
	.p2align	6, 0x0
	.amdhsa_kernel bluestein_single_fwd_len3456_dim1_dp_op_CI_CI
		.amdhsa_group_segment_fixed_size 55296
		.amdhsa_private_segment_fixed_size 1132
		.amdhsa_kernarg_size 104
		.amdhsa_user_sgpr_count 6
		.amdhsa_user_sgpr_private_segment_buffer 1
		.amdhsa_user_sgpr_dispatch_ptr 0
		.amdhsa_user_sgpr_queue_ptr 0
		.amdhsa_user_sgpr_kernarg_segment_ptr 1
		.amdhsa_user_sgpr_dispatch_id 0
		.amdhsa_user_sgpr_flat_scratch_init 0
		.amdhsa_user_sgpr_private_segment_size 0
		.amdhsa_wavefront_size32 1
		.amdhsa_uses_dynamic_stack 0
		.amdhsa_system_sgpr_private_segment_wavefront_offset 1
		.amdhsa_system_sgpr_workgroup_id_x 1
		.amdhsa_system_sgpr_workgroup_id_y 0
		.amdhsa_system_sgpr_workgroup_id_z 0
		.amdhsa_system_sgpr_workgroup_info 0
		.amdhsa_system_vgpr_workitem_id 0
		.amdhsa_next_free_vgpr 256
		.amdhsa_next_free_sgpr 24
		.amdhsa_reserve_vcc 1
		.amdhsa_reserve_flat_scratch 0
		.amdhsa_float_round_mode_32 0
		.amdhsa_float_round_mode_16_64 0
		.amdhsa_float_denorm_mode_32 3
		.amdhsa_float_denorm_mode_16_64 3
		.amdhsa_dx10_clamp 1
		.amdhsa_ieee_mode 1
		.amdhsa_fp16_overflow 0
		.amdhsa_workgroup_processor_mode 1
		.amdhsa_memory_ordered 1
		.amdhsa_forward_progress 0
		.amdhsa_shared_vgpr_count 0
		.amdhsa_exception_fp_ieee_invalid_op 0
		.amdhsa_exception_fp_denorm_src 0
		.amdhsa_exception_fp_ieee_div_zero 0
		.amdhsa_exception_fp_ieee_overflow 0
		.amdhsa_exception_fp_ieee_underflow 0
		.amdhsa_exception_fp_ieee_inexact 0
		.amdhsa_exception_int_div_zero 0
	.end_amdhsa_kernel
	.text
.Lfunc_end0:
	.size	bluestein_single_fwd_len3456_dim1_dp_op_CI_CI, .Lfunc_end0-bluestein_single_fwd_len3456_dim1_dp_op_CI_CI
                                        ; -- End function
	.section	.AMDGPU.csdata,"",@progbits
; Kernel info:
; codeLenInByte = 35800
; NumSgprs: 26
; NumVgprs: 256
; ScratchSize: 1132
; MemoryBound: 0
; FloatMode: 240
; IeeeMode: 1
; LDSByteSize: 55296 bytes/workgroup (compile time only)
; SGPRBlocks: 3
; VGPRBlocks: 31
; NumSGPRsForWavesPerEU: 26
; NumVGPRsForWavesPerEU: 256
; Occupancy: 3
; WaveLimiterHint : 1
; COMPUTE_PGM_RSRC2:SCRATCH_EN: 1
; COMPUTE_PGM_RSRC2:USER_SGPR: 6
; COMPUTE_PGM_RSRC2:TRAP_HANDLER: 0
; COMPUTE_PGM_RSRC2:TGID_X_EN: 1
; COMPUTE_PGM_RSRC2:TGID_Y_EN: 0
; COMPUTE_PGM_RSRC2:TGID_Z_EN: 0
; COMPUTE_PGM_RSRC2:TIDIG_COMP_CNT: 0
	.text
	.p2alignl 6, 3214868480
	.fill 48, 4, 3214868480
	.type	__hip_cuid_ffb2ee5bd22d88eb,@object ; @__hip_cuid_ffb2ee5bd22d88eb
	.section	.bss,"aw",@nobits
	.globl	__hip_cuid_ffb2ee5bd22d88eb
__hip_cuid_ffb2ee5bd22d88eb:
	.byte	0                               ; 0x0
	.size	__hip_cuid_ffb2ee5bd22d88eb, 1

	.ident	"AMD clang version 19.0.0git (https://github.com/RadeonOpenCompute/llvm-project roc-6.4.0 25133 c7fe45cf4b819c5991fe208aaa96edf142730f1d)"
	.section	".note.GNU-stack","",@progbits
	.addrsig
	.addrsig_sym __hip_cuid_ffb2ee5bd22d88eb
	.amdgpu_metadata
---
amdhsa.kernels:
  - .args:
      - .actual_access:  read_only
        .address_space:  global
        .offset:         0
        .size:           8
        .value_kind:     global_buffer
      - .actual_access:  read_only
        .address_space:  global
        .offset:         8
        .size:           8
        .value_kind:     global_buffer
      - .actual_access:  read_only
        .address_space:  global
        .offset:         16
        .size:           8
        .value_kind:     global_buffer
      - .actual_access:  read_only
        .address_space:  global
        .offset:         24
        .size:           8
        .value_kind:     global_buffer
      - .actual_access:  read_only
        .address_space:  global
        .offset:         32
        .size:           8
        .value_kind:     global_buffer
      - .offset:         40
        .size:           8
        .value_kind:     by_value
      - .address_space:  global
        .offset:         48
        .size:           8
        .value_kind:     global_buffer
      - .address_space:  global
        .offset:         56
        .size:           8
        .value_kind:     global_buffer
      - .address_space:  global
        .offset:         64
        .size:           8
        .value_kind:     global_buffer
      - .address_space:  global
        .offset:         72
        .size:           8
        .value_kind:     global_buffer
      - .offset:         80
        .size:           4
        .value_kind:     by_value
      - .address_space:  global
        .offset:         88
        .size:           8
        .value_kind:     global_buffer
      - .address_space:  global
        .offset:         96
        .size:           8
        .value_kind:     global_buffer
    .group_segment_fixed_size: 55296
    .kernarg_segment_align: 8
    .kernarg_segment_size: 104
    .language:       OpenCL C
    .language_version:
      - 2
      - 0
    .max_flat_workgroup_size: 144
    .name:           bluestein_single_fwd_len3456_dim1_dp_op_CI_CI
    .private_segment_fixed_size: 1132
    .sgpr_count:     26
    .sgpr_spill_count: 0
    .symbol:         bluestein_single_fwd_len3456_dim1_dp_op_CI_CI.kd
    .uniform_work_group_size: 1
    .uses_dynamic_stack: false
    .vgpr_count:     256
    .vgpr_spill_count: 282
    .wavefront_size: 32
    .workgroup_processor_mode: 1
amdhsa.target:   amdgcn-amd-amdhsa--gfx1030
amdhsa.version:
  - 1
  - 2
...

	.end_amdgpu_metadata
